;; amdgpu-corpus repo=ROCm/rocFFT kind=compiled arch=gfx906 opt=O3
	.text
	.amdgcn_target "amdgcn-amd-amdhsa--gfx906"
	.amdhsa_code_object_version 6
	.protected	bluestein_single_fwd_len1540_dim1_half_op_CI_CI ; -- Begin function bluestein_single_fwd_len1540_dim1_half_op_CI_CI
	.globl	bluestein_single_fwd_len1540_dim1_half_op_CI_CI
	.p2align	8
	.type	bluestein_single_fwd_len1540_dim1_half_op_CI_CI,@function
bluestein_single_fwd_len1540_dim1_half_op_CI_CI: ; @bluestein_single_fwd_len1540_dim1_half_op_CI_CI
; %bb.0:
	s_load_dwordx4 s[0:3], s[4:5], 0x28
	v_mul_u32_u24_e32 v1, 0x1aa, v0
	v_add_u32_sdwa v12, s6, v1 dst_sel:DWORD dst_unused:UNUSED_PAD src0_sel:DWORD src1_sel:WORD_1
	v_mov_b32_e32 v13, 0
	s_waitcnt lgkmcnt(0)
	v_cmp_gt_u64_e32 vcc, s[0:1], v[12:13]
	s_and_saveexec_b64 s[0:1], vcc
	s_cbranch_execz .LBB0_23
; %bb.1:
	s_load_dwordx2 s[6:7], s[4:5], 0x0
	s_load_dwordx2 s[12:13], s[4:5], 0x38
	s_movk_i32 s0, 0x9a
	v_mul_lo_u16_sdwa v1, v1, s0 dst_sel:DWORD dst_unused:UNUSED_PAD src0_sel:WORD_1 src1_sel:DWORD
	v_sub_u16_e32 v31, v0, v1
	s_movk_i32 s0, 0x8c
	v_cmp_gt_u16_e64 s[0:1], s0, v31
	v_lshlrev_b32_e32 v30, 2, v31
	s_and_saveexec_b64 s[8:9], s[0:1]
	s_cbranch_execz .LBB0_3
; %bb.2:
	s_load_dwordx2 s[10:11], s[4:5], 0x18
	s_waitcnt lgkmcnt(0)
	s_load_dwordx4 s[16:19], s[10:11], 0x0
	s_waitcnt lgkmcnt(0)
	v_mad_u64_u32 v[0:1], s[10:11], s18, v12, 0
	v_mad_u64_u32 v[2:3], s[10:11], s16, v31, 0
	;; [unrolled: 1-line block ×4, first 2 shown]
	v_mov_b32_e32 v1, v4
	v_lshlrev_b64 v[0:1], 2, v[0:1]
	v_mov_b32_e32 v3, v5
	v_mov_b32_e32 v6, s3
	v_lshlrev_b64 v[2:3], 2, v[2:3]
	v_add_co_u32_e32 v0, vcc, s2, v0
	v_addc_co_u32_e32 v1, vcc, v6, v1, vcc
	v_add_co_u32_e32 v0, vcc, v0, v2
	v_addc_co_u32_e32 v1, vcc, v1, v3, vcc
	v_mov_b32_e32 v2, s7
	v_add_co_u32_e32 v4, vcc, s6, v30
	s_mul_i32 s2, s17, 0x230
	s_mul_hi_u32 s3, s16, 0x230
	v_addc_co_u32_e32 v5, vcc, 0, v2, vcc
	s_add_i32 s2, s3, s2
	s_mul_i32 s3, s16, 0x230
	v_mov_b32_e32 v3, s2
	v_add_co_u32_e32 v2, vcc, s3, v0
	v_addc_co_u32_e32 v3, vcc, v1, v3, vcc
	global_load_dword v6, v[0:1], off
	global_load_dword v7, v[2:3], off
	global_load_dword v8, v30, s[6:7]
	global_load_dword v9, v30, s[6:7] offset:560
	v_mov_b32_e32 v1, s2
	v_add_co_u32_e32 v0, vcc, s3, v2
	v_addc_co_u32_e32 v1, vcc, v3, v1, vcc
	global_load_dword v11, v[0:1], off
	global_load_dword v13, v30, s[6:7] offset:1120
	v_mov_b32_e32 v3, s2
	v_add_co_u32_e32 v2, vcc, s3, v0
	v_addc_co_u32_e32 v3, vcc, v1, v3, vcc
	v_mov_b32_e32 v10, s2
	v_add_co_u32_e32 v0, vcc, s3, v2
	v_addc_co_u32_e32 v1, vcc, v3, v10, vcc
	global_load_dword v10, v[2:3], off
	global_load_dword v14, v30, s[6:7] offset:1680
	global_load_dword v15, v[0:1], off
	global_load_dword v16, v30, s[6:7] offset:2240
	v_mov_b32_e32 v2, s2
	v_add_co_u32_e32 v0, vcc, s3, v0
	v_addc_co_u32_e32 v1, vcc, v1, v2, vcc
	global_load_dword v17, v[0:1], off
	v_add_co_u32_e32 v0, vcc, s3, v0
	v_addc_co_u32_e32 v1, vcc, v1, v2, vcc
	global_load_dword v18, v30, s[6:7] offset:2800
	global_load_dword v19, v[0:1], off
	v_add_co_u32_e32 v0, vcc, s3, v0
	v_addc_co_u32_e32 v1, vcc, v1, v2, vcc
	global_load_dword v20, v[0:1], off
	global_load_dword v21, v30, s[6:7] offset:3360
	global_load_dword v22, v30, s[6:7] offset:3920
	v_add_co_u32_e32 v0, vcc, s3, v0
	v_addc_co_u32_e32 v1, vcc, v1, v2, vcc
	s_movk_i32 s10, 0x1000
	v_add_co_u32_e32 v2, vcc, s10, v4
	global_load_dword v23, v[0:1], off
	v_addc_co_u32_e32 v3, vcc, 0, v5, vcc
	global_load_dword v5, v[2:3], off offset:384
	v_mov_b32_e32 v4, s2
	v_add_co_u32_e32 v0, vcc, s3, v0
	v_addc_co_u32_e32 v1, vcc, v1, v4, vcc
	global_load_dword v4, v[0:1], off
	global_load_dword v24, v[2:3], off offset:944
	v_mov_b32_e32 v25, s2
	v_add_co_u32_e32 v0, vcc, s3, v0
	v_addc_co_u32_e32 v1, vcc, v1, v25, vcc
	global_load_dword v25, v[0:1], off
	global_load_dword v26, v[2:3], off offset:1504
	s_waitcnt vmcnt(21)
	v_lshrrev_b32_e32 v0, 16, v6
	s_waitcnt vmcnt(19)
	v_mul_f16_sdwa v1, v8, v0 dst_sel:DWORD dst_unused:UNUSED_PAD src0_sel:WORD_1 src1_sel:DWORD
	v_mul_f16_sdwa v2, v8, v6 dst_sel:DWORD dst_unused:UNUSED_PAD src0_sel:WORD_1 src1_sel:DWORD
	v_fma_f16 v1, v8, v6, v1
	v_fma_f16 v0, v8, v0, -v2
	v_pack_b32_f16 v0, v1, v0
	v_lshrrev_b32_e32 v1, 16, v7
	s_waitcnt vmcnt(18)
	v_mul_f16_sdwa v2, v9, v1 dst_sel:DWORD dst_unused:UNUSED_PAD src0_sel:WORD_1 src1_sel:DWORD
	v_mul_f16_sdwa v3, v9, v7 dst_sel:DWORD dst_unused:UNUSED_PAD src0_sel:WORD_1 src1_sel:DWORD
	v_fma_f16 v2, v9, v7, v2
	v_fma_f16 v1, v9, v1, -v3
	v_pack_b32_f16 v1, v2, v1
	ds_write2_b32 v30, v0, v1 offset1:140
	s_waitcnt vmcnt(17)
	v_lshrrev_b32_e32 v0, 16, v11
	s_waitcnt vmcnt(16)
	v_mul_f16_sdwa v1, v13, v0 dst_sel:DWORD dst_unused:UNUSED_PAD src0_sel:WORD_1 src1_sel:DWORD
	v_mul_f16_sdwa v2, v13, v11 dst_sel:DWORD dst_unused:UNUSED_PAD src0_sel:WORD_1 src1_sel:DWORD
	v_fma_f16 v1, v13, v11, v1
	v_fma_f16 v0, v13, v0, -v2
	v_pack_b32_f16 v0, v1, v0
	s_waitcnt vmcnt(15)
	v_lshrrev_b32_e32 v1, 16, v10
	s_waitcnt vmcnt(14)
	v_mul_f16_sdwa v2, v14, v1 dst_sel:DWORD dst_unused:UNUSED_PAD src0_sel:WORD_1 src1_sel:DWORD
	v_mul_f16_sdwa v3, v14, v10 dst_sel:DWORD dst_unused:UNUSED_PAD src0_sel:WORD_1 src1_sel:DWORD
	v_fma_f16 v2, v14, v10, v2
	v_fma_f16 v1, v14, v1, -v3
	v_pack_b32_f16 v1, v2, v1
	v_add_u32_e32 v2, 0x400, v30
	ds_write2_b32 v2, v0, v1 offset0:24 offset1:164
	s_waitcnt vmcnt(13)
	v_lshrrev_b32_e32 v0, 16, v15
	s_waitcnt vmcnt(12)
	v_mul_f16_sdwa v1, v16, v0 dst_sel:DWORD dst_unused:UNUSED_PAD src0_sel:WORD_1 src1_sel:DWORD
	v_mul_f16_sdwa v2, v16, v15 dst_sel:DWORD dst_unused:UNUSED_PAD src0_sel:WORD_1 src1_sel:DWORD
	v_fma_f16 v1, v16, v15, v1
	v_fma_f16 v0, v16, v0, -v2
	v_pack_b32_f16 v0, v1, v0
	s_waitcnt vmcnt(11)
	v_lshrrev_b32_e32 v1, 16, v17
	s_waitcnt vmcnt(10)
	v_mul_f16_sdwa v2, v18, v1 dst_sel:DWORD dst_unused:UNUSED_PAD src0_sel:WORD_1 src1_sel:DWORD
	v_mul_f16_sdwa v3, v18, v17 dst_sel:DWORD dst_unused:UNUSED_PAD src0_sel:WORD_1 src1_sel:DWORD
	v_fma_f16 v2, v18, v17, v2
	v_fma_f16 v1, v18, v1, -v3
	v_pack_b32_f16 v1, v2, v1
	v_add_u32_e32 v2, 0x800, v30
	ds_write2_b32 v2, v0, v1 offset0:48 offset1:188
	s_waitcnt vmcnt(9)
	v_lshrrev_b32_e32 v0, 16, v19
	s_waitcnt vmcnt(7)
	v_mul_f16_sdwa v1, v21, v0 dst_sel:DWORD dst_unused:UNUSED_PAD src0_sel:WORD_1 src1_sel:DWORD
	v_mul_f16_sdwa v2, v21, v19 dst_sel:DWORD dst_unused:UNUSED_PAD src0_sel:WORD_1 src1_sel:DWORD
	v_fma_f16 v1, v21, v19, v1
	v_fma_f16 v0, v21, v0, -v2
	v_pack_b32_f16 v0, v1, v0
	v_lshrrev_b32_e32 v1, 16, v20
	s_waitcnt vmcnt(6)
	v_mul_f16_sdwa v2, v22, v1 dst_sel:DWORD dst_unused:UNUSED_PAD src0_sel:WORD_1 src1_sel:DWORD
	v_mul_f16_sdwa v3, v22, v20 dst_sel:DWORD dst_unused:UNUSED_PAD src0_sel:WORD_1 src1_sel:DWORD
	v_fma_f16 v2, v22, v20, v2
	v_fma_f16 v1, v22, v1, -v3
	v_pack_b32_f16 v1, v2, v1
	v_add_u32_e32 v2, 0xc00, v30
	ds_write2_b32 v2, v0, v1 offset0:72 offset1:212
	s_waitcnt vmcnt(5)
	v_lshrrev_b32_e32 v0, 16, v23
	s_waitcnt vmcnt(4)
	v_mul_f16_sdwa v1, v5, v0 dst_sel:DWORD dst_unused:UNUSED_PAD src0_sel:WORD_1 src1_sel:DWORD
	v_mul_f16_sdwa v2, v5, v23 dst_sel:DWORD dst_unused:UNUSED_PAD src0_sel:WORD_1 src1_sel:DWORD
	v_fma_f16 v1, v5, v23, v1
	v_fma_f16 v0, v5, v0, -v2
	v_pack_b32_f16 v0, v1, v0
	s_waitcnt vmcnt(3)
	v_lshrrev_b32_e32 v1, 16, v4
	s_waitcnt vmcnt(2)
	v_mul_f16_sdwa v2, v24, v1 dst_sel:DWORD dst_unused:UNUSED_PAD src0_sel:WORD_1 src1_sel:DWORD
	v_mul_f16_sdwa v3, v24, v4 dst_sel:DWORD dst_unused:UNUSED_PAD src0_sel:WORD_1 src1_sel:DWORD
	v_fma_f16 v2, v24, v4, v2
	v_fma_f16 v1, v24, v1, -v3
	v_pack_b32_f16 v1, v2, v1
	v_add_u32_e32 v2, 0x1000, v30
	ds_write2_b32 v2, v0, v1 offset0:96 offset1:236
	s_waitcnt vmcnt(1)
	v_lshrrev_b32_e32 v0, 16, v25
	s_waitcnt vmcnt(0)
	v_mul_f16_sdwa v1, v26, v0 dst_sel:DWORD dst_unused:UNUSED_PAD src0_sel:WORD_1 src1_sel:DWORD
	v_mul_f16_sdwa v2, v26, v25 dst_sel:DWORD dst_unused:UNUSED_PAD src0_sel:WORD_1 src1_sel:DWORD
	v_fma_f16 v1, v26, v25, v1
	v_fma_f16 v0, v26, v0, -v2
	v_pack_b32_f16 v0, v1, v0
	ds_write_b32 v30, v0 offset:5600
.LBB0_3:
	s_or_b64 exec, exec, s[8:9]
	s_load_dwordx2 s[2:3], s[4:5], 0x20
	s_load_dwordx2 s[14:15], s[4:5], 0x8
	v_mov_b32_e32 v0, 0
	s_waitcnt lgkmcnt(0)
	s_barrier
	s_waitcnt lgkmcnt(0)
                                        ; implicit-def: $vgpr8
                                        ; implicit-def: $vgpr3
                                        ; implicit-def: $vgpr5
                                        ; implicit-def: $vgpr7
                                        ; implicit-def: $vgpr11
	s_and_saveexec_b64 s[4:5], s[0:1]
	s_cbranch_execz .LBB0_5
; %bb.4:
	v_add_u32_e32 v2, 0x400, v30
	ds_read2_b32 v[10:11], v2 offset0:24 offset1:164
	v_add_u32_e32 v2, 0x800, v30
	ds_read2_b32 v[6:7], v2 offset0:48 offset1:188
	;; [unrolled: 2-line block ×3, first 2 shown]
	v_add_u32_e32 v2, 0x1000, v30
	ds_read2_b32 v[0:1], v30 offset1:140
	ds_read2_b32 v[2:3], v2 offset0:96 offset1:236
	ds_read_b32 v8, v30 offset:5600
.LBB0_5:
	s_or_b64 exec, exec, s[4:5]
	s_waitcnt lgkmcnt(0)
	v_pk_add_f16 v15, v8, v1
	v_pk_add_f16 v13, v1, v8 neg_lo:[0,1] neg_hi:[0,1]
	s_movk_i32 s8, 0x3abb
	v_lshrrev_b32_e32 v28, 16, v15
	v_mul_f16_e32 v27, 0xb853, v13
	s_mov_b32 s20, 0xb853
	v_fma_f16 v14, v28, s8, -v27
	v_mul_f16_sdwa v23, v13, s20 dst_sel:DWORD dst_unused:UNUSED_PAD src0_sel:WORD_1 src1_sel:DWORD
	v_add_f16_sdwa v16, v14, v0 dst_sel:DWORD dst_unused:UNUSED_PAD src0_sel:DWORD src1_sel:WORD_1
	v_pk_add_f16 v14, v10, v3 neg_lo:[0,1] neg_hi:[0,1]
	s_mov_b32 s22, 0xbb47
	v_fma_f16 v9, v15, s8, v23
	v_pk_add_f16 v17, v3, v10
	s_movk_i32 s10, 0x36a6
	v_mul_f16_sdwa v24, v14, s22 dst_sel:DWORD dst_unused:UNUSED_PAD src0_sel:WORD_1 src1_sel:DWORD
	v_add_f16_e32 v9, v9, v0
	v_lshrrev_b32_e32 v34, 16, v17
	v_mul_f16_e32 v32, 0xbb47, v14
	v_fma_f16 v18, v17, s10, v24
	v_add_f16_e32 v9, v18, v9
	v_fma_f16 v18, v34, s10, -v32
	v_add_f16_e32 v19, v18, v16
	v_pk_add_f16 v16, v11, v2 neg_lo:[0,1] neg_hi:[0,1]
	s_mov_b32 s9, 0xbbeb
	v_pk_add_f16 v18, v2, v11
	s_mov_b32 s11, 0xb08e
	v_mul_f16_sdwa v26, v16, s9 dst_sel:DWORD dst_unused:UNUSED_PAD src0_sel:WORD_1 src1_sel:DWORD
	v_fma_f16 v20, v18, s11, v26
	v_lshrrev_b32_e32 v37, 16, v18
	v_mul_f16_e32 v36, 0xbbeb, v16
	v_add_f16_e32 v9, v20, v9
	v_fma_f16 v20, v37, s11, -v36
	v_add_f16_e32 v21, v20, v19
	s_mov_b32 s16, 0xba0c
	v_pk_add_f16 v19, v6, v5 neg_lo:[0,1] neg_hi:[0,1]
	s_mov_b32 s17, 0xb93d
	v_pk_add_f16 v20, v5, v6
	v_mul_f16_sdwa v29, v19, s16 dst_sel:DWORD dst_unused:UNUSED_PAD src0_sel:WORD_1 src1_sel:DWORD
	v_fma_f16 v22, v20, s17, v29
	v_lshrrev_b32_e32 v39, 16, v20
	v_mul_f16_e32 v38, 0xba0c, v19
	v_add_f16_e32 v9, v22, v9
	v_fma_f16 v22, v39, s17, -v38
	v_add_f16_e32 v25, v22, v21
	v_pk_add_f16 v22, v4, v7
	v_pk_add_f16 v21, v7, v4 neg_lo:[0,1] neg_hi:[0,1]
	s_mov_b32 s19, 0xbbad
	v_lshrrev_b32_e32 v41, 16, v22
	v_mul_f16_e32 v40, 0xb482, v21
	s_mov_b32 s18, 0xb482
	v_fma_f16 v33, v41, s19, -v40
	v_mul_f16_sdwa v35, v21, s18 dst_sel:DWORD dst_unused:UNUSED_PAD src0_sel:WORD_1 src1_sel:DWORD
	v_add_f16_e32 v25, v33, v25
	v_fma_f16 v33, v22, s19, v35
	v_add_f16_e32 v9, v33, v9
	v_mul_lo_u16_e32 v33, 11, v31
	s_barrier
	s_and_saveexec_b64 s[4:5], s[0:1]
	s_cbranch_execz .LBB0_7
; %bb.6:
	v_mul_f16_sdwa v42, v13, s22 dst_sel:DWORD dst_unused:UNUSED_PAD src0_sel:WORD_1 src1_sel:DWORD
	v_fma_f16 v43, v15, s10, v42
	v_mul_f16_sdwa v44, v14, s16 dst_sel:DWORD dst_unused:UNUSED_PAD src0_sel:WORD_1 src1_sel:DWORD
	s_movk_i32 s21, 0x3482
	v_pk_add_f16 v1, v1, v0
	v_add_f16_e32 v43, v43, v0
	v_fma_f16 v45, v17, s17, v44
	v_pk_add_f16 v1, v10, v1
	v_mul_f16_sdwa v10, v16, s21 dst_sel:DWORD dst_unused:UNUSED_PAD src0_sel:WORD_1 src1_sel:DWORD
	v_add_f16_e32 v43, v45, v43
	v_pk_add_f16 v1, v11, v1
	v_fma_f16 v11, v18, s19, v10
	s_movk_i32 s24, 0x3beb
	v_add_f16_e32 v11, v11, v43
	v_mul_f16_sdwa v43, v19, s24 dst_sel:DWORD dst_unused:UNUSED_PAD src0_sel:WORD_1 src1_sel:DWORD
	s_movk_i32 s23, 0x3853
	v_fma_f16 v45, v20, s11, v43
	v_pk_add_f16 v1, v6, v1
	v_mul_f16_sdwa v6, v21, s23 dst_sel:DWORD dst_unused:UNUSED_PAD src0_sel:WORD_1 src1_sel:DWORD
	v_add_f16_e32 v11, v45, v11
	v_pk_add_f16 v1, v7, v1
	v_fma_f16 v7, v22, s8, v6
	v_add_f16_e32 v7, v7, v11
	v_mul_f16_e32 v11, 0xb08e, v28
	v_pk_add_f16 v1, v4, v1
	v_pk_add_f16 v1, v5, v1
	v_fma_f16 v4, v13, s24, v11
	v_mul_f16_e32 v5, 0xbbad, v34
	v_add_f16_sdwa v4, v4, v0 dst_sel:DWORD dst_unused:UNUSED_PAD src0_sel:DWORD src1_sel:WORD_1
	v_fma_f16 v45, v14, s18, v5
	v_pk_add_f16 v1, v2, v1
	v_mul_f16_e32 v2, 0x36a6, v37
	v_add_f16_e32 v4, v45, v4
	v_pk_add_f16 v1, v3, v1
	v_fma_f16 v3, v16, s22, v2
	v_add_f16_e32 v3, v3, v4
	v_mul_f16_e32 v4, 0x3abb, v39
	v_fma_f16 v45, v19, s23, v4
	v_add_f16_e32 v3, v45, v3
	s_movk_i32 s22, 0x3a0c
	v_mul_f16_e32 v45, 0xb93d, v41
	v_fma_f16 v46, v21, s22, v45
	s_mov_b32 s25, 0x36a6b08e
	v_add_f16_e32 v3, v46, v3
	s_mov_b32 s26, 0xbbebbb47
	s_mov_b32 s27, 0xb93dbbad
	v_pk_mul_f16 v46, v15, s25
	s_mov_b32 s28, 0x3482ba0c
	v_pk_fma_f16 v47, v13, s26, v46 op_sel:[0,0,1] op_sel_hi:[1,1,0]
	v_pk_mul_f16 v49, v17, s27
	v_alignbit_b32 v48, s0, v47, 16
	v_pk_fma_f16 v50, v14, s28, v49 op_sel:[0,0,1] op_sel_hi:[1,1,0]
	v_pk_add_f16 v48, v48, v0
	v_alignbit_b32 v51, s0, v50, 16
	s_mov_b32 s25, 0xbbad36a6
	v_pk_add_f16 v48, v51, v48
	s_mov_b32 s27, 0x3b473482
	v_pk_mul_f16 v51, v18, s25
	v_pk_fma_f16 v52, v16, s27, v51 op_sel:[0,0,1] op_sel_hi:[1,1,0]
	v_alignbit_b32 v53, s0, v52, 16
	v_pk_add_f16 v48, v53, v48
	v_mul_f16_e32 v53, 0xb93d, v28
	v_fma_f16 v11, v13, s9, v11
	v_fma_f16 v54, v13, s22, v53
	s_movk_i32 s22, 0x3b47
	v_add_f16_sdwa v11, v11, v0 dst_sel:DWORD dst_unused:UNUSED_PAD src0_sel:DWORD src1_sel:WORD_1
	v_fma_f16 v5, v14, s21, v5
	v_add_f16_e32 v5, v5, v11
	v_fma_f16 v2, v16, s22, v2
	v_add_f16_e32 v2, v2, v5
	;; [unrolled: 2-line block ×4, first 2 shown]
	v_fma_f16 v4, v15, s10, -v42
	v_add_f16_e32 v4, v4, v0
	v_fma_f16 v5, v17, s17, -v44
	v_add_f16_e32 v4, v5, v4
	;; [unrolled: 2-line block ×5, first 2 shown]
	v_mul_f16_e32 v5, 0x3abb, v28
	v_add_f16_e32 v5, v27, v5
	v_mul_f16_e32 v6, 0x36a6, v34
	v_add_f16_e32 v6, v32, v6
	v_add_f16_sdwa v5, v5, v0 dst_sel:DWORD dst_unused:UNUSED_PAD src0_sel:DWORD src1_sel:WORD_1
	v_add_f16_e32 v5, v6, v5
	v_mul_f16_e32 v6, 0xb08e, v37
	v_add_f16_e32 v6, v36, v6
	v_mul_f16_e32 v55, 0xb08e, v34
	;; [unrolled: 2-line block ×3, first 2 shown]
	v_add_f16_sdwa v54, v54, v0 dst_sel:DWORD dst_unused:UNUSED_PAD src0_sel:DWORD src1_sel:WORD_1
	v_fma_f16 v56, v14, s9, v55
	v_add_f16_e32 v6, v38, v6
	v_add_f16_e32 v54, v56, v54
	v_mul_f16_e32 v56, 0x3abb, v37
	v_add_f16_e32 v5, v6, v5
	v_mul_f16_e32 v6, 0x3abb, v15
	v_mul_f16_e32 v10, 0xbbad, v41
	v_fma_f16 v57, v16, s23, v56
	v_add_f16_e32 v10, v40, v10
	v_mul_f16_e32 v11, 0x36a6, v17
	v_sub_f16_e32 v6, v6, v23
	v_add_f16_e32 v54, v57, v54
	v_mul_f16_sdwa v57, v13, s16 dst_sel:DWORD dst_unused:UNUSED_PAD src0_sel:WORD_1 src1_sel:DWORD
	v_add_f16_e32 v5, v10, v5
	v_mul_f16_e32 v10, 0xb08e, v18
	v_sub_f16_e32 v11, v11, v24
	v_add_f16_e32 v6, v6, v0
	v_fma_f16 v58, v15, s17, v57
	v_mul_f16_sdwa v59, v14, s24 dst_sel:DWORD dst_unused:UNUSED_PAD src0_sel:WORD_1 src1_sel:DWORD
	v_fma_f16 v53, v13, s16, v53
	v_mul_f16_e32 v23, 0xb93d, v20
	v_add_f16_e32 v6, v11, v6
	v_sub_f16_e32 v10, v10, v26
	v_add_f16_e32 v58, v58, v0
	v_fma_f16 v60, v17, s11, v59
	v_add_f16_sdwa v53, v53, v0 dst_sel:DWORD dst_unused:UNUSED_PAD src0_sel:DWORD src1_sel:WORD_1
	v_fma_f16 v55, v14, s24, v55
	v_mul_f16_e32 v24, 0xbbad, v22
	v_add_f16_e32 v6, v10, v6
	v_sub_f16_e32 v23, v23, v29
	v_add_f16_e32 v58, v60, v58
	v_mul_f16_sdwa v60, v16, s20 dst_sel:DWORD dst_unused:UNUSED_PAD src0_sel:WORD_1 src1_sel:DWORD
	v_add_f16_e32 v53, v55, v53
	v_fma_f16 v55, v16, s20, v56
	s_mov_b32 s20, 0xb08e3abb
	v_add_f16_e32 v6, v23, v6
	v_sub_f16_e32 v24, v24, v35
	v_pk_mul_f16 v26, v20, s20
	s_mov_b32 s20, 0xb8533beb
	v_add_f16_e32 v6, v24, v6
	v_pk_fma_f16 v27, v13, s26, v46 op_sel:[0,0,1] op_sel_hi:[1,1,0] neg_lo:[1,0,0] neg_hi:[1,0,0]
	v_pk_fma_f16 v10, v19, s20, v26 op_sel:[0,0,1] op_sel_hi:[1,1,0] neg_lo:[1,0,0] neg_hi:[1,0,0]
	v_pk_fma_f16 v26, v19, s20, v26 op_sel:[0,0,1] op_sel_hi:[1,1,0]
	v_pk_add_f16 v1, v8, v1
	v_pack_b32_f16 v5, v6, v5
	v_lshlrev_b32_e32 v6, 2, v33
	s_mov_b32 s20, 0xffff
	v_pk_fma_f16 v28, v14, s28, v49 op_sel:[0,0,1] op_sel_hi:[1,1,0] neg_lo:[1,0,0] neg_hi:[1,0,0]
	ds_write2_b32 v6, v1, v5 offset1:1
	v_bfi_b32 v1, s20, v47, v27
	v_fma_f16 v61, v18, s8, v60
	v_pk_fma_f16 v32, v16, s27, v51 op_sel:[0,0,1] op_sel_hi:[1,1,0] neg_lo:[1,0,0] neg_hi:[1,0,0]
	v_pk_add_f16 v1, v1, v0 op_sel:[0,1] op_sel_hi:[1,0]
	v_bfi_b32 v5, s20, v50, v28
	v_add_f16_e32 v58, v61, v58
	v_mul_f16_sdwa v61, v19, s18 dst_sel:DWORD dst_unused:UNUSED_PAD src0_sel:WORD_1 src1_sel:DWORD
	v_fma_f16 v57, v15, s17, -v57
	s_mov_b32 s24, 0x3abbb93d
	v_pk_add_f16 v1, v5, v1
	v_bfi_b32 v5, s20, v52, v32
	v_fma_f16 v62, v20, s19, v61
	v_add_f16_e32 v53, v55, v53
	v_mul_f16_e32 v55, 0xbbad, v39
	v_add_f16_e32 v57, v57, v0
	v_fma_f16 v59, v17, s11, -v59
	v_pk_mul_f16 v29, v22, s24
	s_mov_b32 s24, 0xba0c3853
	v_pk_add_f16 v1, v5, v1
	v_bfi_b32 v5, s20, v26, v10
	v_add_f16_e32 v58, v62, v58
	v_mul_f16_sdwa v62, v21, s22 dst_sel:DWORD dst_unused:UNUSED_PAD src0_sel:WORD_1 src1_sel:DWORD
	v_fma_f16 v56, v19, s18, v55
	v_add_f16_e32 v57, v59, v57
	v_fma_f16 v59, v18, s8, -v60
	v_pk_fma_f16 v34, v21, s24, v29 op_sel:[0,0,1] op_sel_hi:[1,1,0] neg_lo:[1,0,0] neg_hi:[1,0,0]
	v_pk_add_f16 v1, v5, v1
	v_pk_fma_f16 v5, v21, s24, v29 op_sel:[0,0,1] op_sel_hi:[1,1,0]
	v_fma_f16 v63, v22, s10, v62
	v_add_f16_e32 v53, v56, v53
	v_mul_f16_e32 v56, 0x36a6, v41
	v_add_f16_e32 v57, v59, v57
	v_fma_f16 v59, v20, s19, -v61
	v_bfi_b32 v5, s20, v5, v34
	v_add_f16_e32 v58, v63, v58
	v_fma_f16 v63, v21, s22, v56
	v_add_f16_e32 v57, v59, v57
	v_fma_f16 v59, v22, s10, -v62
	v_pk_add_f16 v1, v5, v1
	v_add_f16_e32 v53, v63, v53
	v_add_f16_e32 v57, v59, v57
	v_alignbit_b32 v2, v2, v1, 16
	v_pack_b32_f16 v1, v4, v1
	v_add_f16_sdwa v24, v27, v0 dst_sel:DWORD dst_unused:UNUSED_PAD src0_sel:DWORD src1_sel:WORD_1
	ds_write2_b32 v6, v1, v2 offset0:2 offset1:3
	v_pack_b32_f16 v1, v57, v53
	v_add_f16_e32 v24, v28, v24
	ds_write_b32 v6, v1 offset:16
	v_pk_mul_f16 v1, v15, s19 op_sel_hi:[1,0]
	v_alignbit_b32 v11, s0, v0, 16
	v_add_f16_e32 v24, v32, v24
	v_pk_fma_f16 v2, v13, s18, v1 op_sel:[0,0,1] op_sel_hi:[1,0,0] neg_lo:[1,0,0] neg_hi:[1,0,0]
	v_pk_mul_f16 v5, v17, s8 op_sel_hi:[1,0]
	v_add_f16_e32 v24, v10, v24
	v_pk_add_f16 v4, v2, v11
	v_pk_fma_f16 v10, v14, s23, v5 op_sel:[0,0,1] op_sel_hi:[1,0,0] neg_lo:[1,0,0] neg_hi:[1,0,0]
	v_pk_mul_f16 v11, v18, s17 op_sel_hi:[1,0]
	v_pk_fma_f16 v1, v13, s18, v1 op_sel:[0,0,1] op_sel_hi:[1,0,0]
	v_alignbit_b32 v2, s0, v2, 16
	v_pk_fma_f16 v15, v16, s16, v11 op_sel:[0,0,1] op_sel_hi:[1,0,0] neg_lo:[1,0,0] neg_hi:[1,0,0]
	v_pk_mul_f16 v17, v20, s10 op_sel_hi:[1,0]
	v_pk_add_f16 v1, v1, v0 op_sel:[0,1] op_sel_hi:[1,0]
	v_pk_fma_f16 v5, v14, s23, v5 op_sel:[0,0,1] op_sel_hi:[1,0,0]
	v_pk_add_f16 v0, v2, v0
	v_alignbit_b32 v2, s0, v10, 16
	v_pk_add_f16 v4, v10, v4
	v_pk_fma_f16 v18, v19, s22, v17 op_sel:[0,0,1] op_sel_hi:[1,0,0] neg_lo:[1,0,0] neg_hi:[1,0,0]
	v_pk_mul_f16 v20, v22, s11 op_sel_hi:[1,0]
	v_pk_add_f16 v1, v5, v1
	v_pk_fma_f16 v5, v16, s16, v11 op_sel:[0,0,1] op_sel_hi:[1,0,0]
	v_pk_add_f16 v0, v2, v0
	v_alignbit_b32 v2, s0, v15, 16
	v_pk_add_f16 v4, v15, v4
	v_pk_fma_f16 v22, v21, s9, v20 op_sel:[0,0,1] op_sel_hi:[1,0,0] neg_lo:[1,0,0] neg_hi:[1,0,0]
	v_pk_add_f16 v1, v5, v1
	v_pk_fma_f16 v5, v19, s22, v17 op_sel:[0,0,1] op_sel_hi:[1,0,0]
	v_pk_add_f16 v0, v2, v0
	v_alignbit_b32 v2, s0, v18, 16
	v_pk_add_f16 v4, v18, v4
	v_pk_add_f16 v1, v5, v1
	v_pk_fma_f16 v5, v21, s9, v20 op_sel:[0,0,1] op_sel_hi:[1,0,0]
	v_pk_add_f16 v0, v2, v0
	v_alignbit_b32 v2, s0, v22, 16
	v_pk_add_f16 v4, v22, v4
	v_pk_add_f16 v1, v5, v1
	;; [unrolled: 1-line block ×3, first 2 shown]
	v_pk_mul_f16 v23, v21, s24
	v_fma_f16 v35, v19, s21, v55
	v_alignbit_b32 v2, v4, v1, 16
	v_pack_b32_f16 v0, v0, v1
	ds_write2_b32 v6, v0, v2 offset0:5 offset1:6
	v_pack_b32_f16 v0, v35, v29
	v_bfi_b32 v1, s20, v54, v23
	v_mul_f16_e32 v8, 0x3b47, v21
	v_pk_add_f16 v0, v0, v1
	v_lshlrev_b32_e32 v1, 16, v48
	v_pk_add_f16 v2, v56, v8 neg_lo:[0,1] neg_hi:[0,1]
	v_pk_add_f16 v1, v26, v1
	v_bfi_b32 v1, s20, v2, v1
	v_pk_add_f16 v0, v1, v0
	v_add_f16_e32 v24, v34, v24
	v_alignbit_b32 v1, v3, v0, 16
	v_pack_b32_f16 v0, v58, v0
	s_mov_b32 s8, 0x5040100
	ds_write2_b32 v6, v0, v1 offset0:7 offset1:8
	v_pack_b32_f16 v0, v7, v24
	v_perm_b32 v1, v25, v9, s8
	ds_write2_b32 v6, v0, v1 offset0:9 offset1:10
.LBB0_7:
	s_or_b64 exec, exec, s[4:5]
	s_load_dwordx4 s[8:11], s[2:3], 0x0
	s_movk_i32 s2, 0x134
	v_add_co_u32_e32 v1, vcc, s2, v31
	s_movk_i32 s2, 0x1ce
	v_add_co_u32_e32 v2, vcc, s2, v31
	;; [unrolled: 2-line block ×3, first 2 shown]
	s_movk_i32 s2, 0x75
	v_mul_lo_u16_sdwa v0, v31, s2 dst_sel:DWORD dst_unused:UNUSED_PAD src0_sel:BYTE_0 src1_sel:DWORD
	v_sub_u16_sdwa v4, v31, v0 dst_sel:DWORD dst_unused:UNUSED_PAD src0_sel:DWORD src1_sel:BYTE_1
	s_mov_b32 s2, 0xba2f
	v_lshrrev_b16_e32 v4, 1, v4
	v_mul_u32_u24_sdwa v6, v1, s2 dst_sel:DWORD dst_unused:UNUSED_PAD src0_sel:WORD_0 src1_sel:DWORD
	v_and_b32_e32 v4, 0x7f, v4
	v_lshrrev_b32_e32 v19, 19, v6
	v_add_u16_sdwa v0, v4, v0 dst_sel:DWORD dst_unused:UNUSED_PAD src0_sel:DWORD src1_sel:BYTE_1
	v_mul_lo_u16_e32 v6, 11, v19
	v_lshrrev_b16_e32 v15, 3, v0
	v_sub_u16_e32 v20, v1, v6
	v_mul_u32_u24_sdwa v6, v2, s2 dst_sel:DWORD dst_unused:UNUSED_PAD src0_sel:WORD_0 src1_sel:DWORD
	v_mul_lo_u16_e32 v0, 11, v15
	v_lshrrev_b32_e32 v21, 19, v6
	v_sub_u16_e32 v0, v31, v0
	v_add_u16_e32 v26, 0x9a, v31
	v_mul_lo_u16_e32 v6, 11, v21
	v_and_b32_e32 v16, 0xff, v0
	v_mul_u32_u24_e32 v0, 0xba2f, v26
	v_sub_u16_e32 v22, v2, v6
	v_mul_u32_u24_sdwa v6, v3, s2 dst_sel:DWORD dst_unused:UNUSED_PAD src0_sel:WORD_0 src1_sel:DWORD
	v_lshlrev_b32_e32 v4, 2, v16
	v_lshrrev_b32_e32 v17, 19, v0
	v_lshlrev_b32_e32 v1, 2, v20
	v_lshlrev_b32_e32 v2, 2, v22
	v_lshrrev_b32_e32 v23, 19, v6
	s_waitcnt lgkmcnt(0)
	s_barrier
	v_mul_lo_u16_e32 v5, 11, v17
	global_load_dword v40, v4, s[14:15]
	global_load_dword v37, v2, s[14:15]
	v_mul_lo_u16_e32 v4, 11, v23
	global_load_dword v38, v1, s[14:15]
	v_sub_u16_e32 v18, v26, v5
	v_sub_u16_e32 v24, v3, v4
	v_lshlrev_b32_e32 v5, 2, v18
	v_lshlrev_b32_e32 v1, 2, v24
	global_load_dword v39, v5, s[14:15]
	global_load_dword v36, v1, s[14:15]
	v_mov_b32_e32 v1, 2
	v_lshlrev_b32_sdwa v32, v1, v31 dst_sel:DWORD dst_unused:UNUSED_PAD src0_sel:DWORD src1_sel:WORD_0
	v_add_u32_e32 v1, 0x900, v32
	v_add_u32_e32 v6, 0xe00, v32
	;; [unrolled: 1-line block ×3, first 2 shown]
	ds_read2_b32 v[2:3], v32 offset1:154
	v_add_u32_e32 v8, 0x400, v32
	ds_read2_b32 v[4:5], v1 offset0:40 offset1:194
	ds_read2_b32 v[6:7], v6 offset0:28 offset1:182
	;; [unrolled: 1-line block ×4, first 2 shown]
	s_waitcnt lgkmcnt(0)
	v_lshrrev_b32_e32 v28, 16, v5
	v_lshrrev_b32_e32 v35, 16, v7
	;; [unrolled: 1-line block ×10, first 2 shown]
	s_waitcnt vmcnt(0)
	s_barrier
	s_movk_i32 s2, 0x42
	v_cmp_gt_u16_e64 s[2:3], s2, v31
	v_mul_f16_sdwa v46, v5, v40 dst_sel:DWORD dst_unused:UNUSED_PAD src0_sel:DWORD src1_sel:WORD_1
	v_mul_f16_sdwa v45, v28, v40 dst_sel:DWORD dst_unused:UNUSED_PAD src0_sel:DWORD src1_sel:WORD_1
	;; [unrolled: 1-line block ×5, first 2 shown]
	v_fma_f16 v28, v28, v40, v46
	v_fma_f16 v7, v7, v38, -v49
	v_mul_f16_sdwa v52, v13, v37 dst_sel:DWORD dst_unused:UNUSED_PAD src0_sel:DWORD src1_sel:WORD_1
	v_mul_f16_sdwa v48, v6, v39 dst_sel:DWORD dst_unused:UNUSED_PAD src0_sel:DWORD src1_sel:WORD_1
	v_mul_f16_sdwa v53, v44, v36 dst_sel:DWORD dst_unused:UNUSED_PAD src0_sel:DWORD src1_sel:WORD_1
	v_mul_f16_sdwa v47, v29, v39 dst_sel:DWORD dst_unused:UNUSED_PAD src0_sel:DWORD src1_sel:WORD_1
	v_mul_f16_sdwa v54, v14, v36 dst_sel:DWORD dst_unused:UNUSED_PAD src0_sel:DWORD src1_sel:WORD_1
	v_fma_f16 v5, v5, v40, -v45
	v_fma_f16 v29, v29, v39, v48
	v_fma_f16 v13, v13, v37, -v51
	v_fma_f16 v14, v14, v36, -v53
	v_sub_f16_e32 v28, v8, v28
	v_sub_f16_e32 v7, v10, v7
	v_fma_f16 v6, v6, v39, -v47
	v_fma_f16 v42, v42, v37, v52
	v_sub_f16_e32 v5, v2, v5
	v_fma_f16 v45, v8, 2.0, -v28
	v_sub_f16_e32 v47, v27, v29
	v_fma_f16 v49, v10, 2.0, -v7
	v_sub_f16_e32 v10, v11, v13
	v_sub_f16_e32 v8, v4, v14
	v_fma_f16 v2, v2, 2.0, -v5
	v_fma_f16 v48, v27, 2.0, -v47
	v_sub_f16_e32 v27, v41, v42
	v_fma_f16 v13, v11, 2.0, -v10
	v_fma_f16 v11, v4, 2.0, -v8
	v_mul_u32_u24_e32 v4, 22, v15
	v_fma_f16 v35, v35, v38, v50
	v_sub_f16_e32 v6, v3, v6
	v_fma_f16 v50, v41, 2.0, -v27
	v_add_lshl_u32 v41, v4, v16, 2
	v_pack_b32_f16 v2, v2, v45
	v_pack_b32_f16 v4, v5, v28
	v_fma_f16 v3, v3, 2.0, -v6
	ds_write2_b32 v41, v2, v4 offset1:11
	v_mad_legacy_u16 v2, v17, 22, v18
	v_fma_f16 v44, v44, v36, v54
	v_sub_f16_e32 v35, v34, v35
	v_lshlrev_b32_e32 v42, 2, v2
	v_pack_b32_f16 v2, v3, v48
	v_pack_b32_f16 v3, v6, v47
	v_fma_f16 v34, v34, 2.0, -v35
	v_sub_f16_e32 v46, v43, v44
	ds_write2_b32 v42, v2, v3 offset1:11
	v_mad_legacy_u16 v2, v19, 22, v20
	v_fma_f16 v29, v43, 2.0, -v46
	v_lshlrev_b32_e32 v43, 2, v2
	v_pack_b32_f16 v2, v49, v34
	v_pack_b32_f16 v3, v7, v35
	ds_write2_b32 v43, v2, v3 offset1:11
	v_mad_legacy_u16 v2, v21, 22, v22
	v_lshlrev_b32_e32 v44, 2, v2
	v_pack_b32_f16 v2, v13, v50
	v_pack_b32_f16 v3, v10, v27
	ds_write2_b32 v44, v2, v3 offset1:11
	v_mad_legacy_u16 v2, v23, 22, v24
	v_lshlrev_b32_e32 v45, 2, v2
	v_pack_b32_f16 v2, v11, v29
	v_pack_b32_f16 v3, v8, v46
	ds_write2_b32 v45, v2, v3 offset1:11
	v_add_u32_e32 v2, 0x680, v32
	s_waitcnt lgkmcnt(0)
	s_barrier
	ds_read2_b32 v[19:20], v2 offset0:24 offset1:244
	v_add_u32_e32 v2, 0xd80, v32
	ds_read2_b32 v[17:18], v32 offset1:220
	ds_read2_b32 v[21:22], v2 offset0:16 offset1:236
	ds_read_b32 v28, v32 offset:5280
                                        ; implicit-def: $vgpr24
                                        ; implicit-def: $vgpr48
                                        ; implicit-def: $vgpr47
                                        ; implicit-def: $vgpr49
                                        ; implicit-def: $vgpr50
	s_and_saveexec_b64 s[4:5], s[2:3]
	s_cbranch_execz .LBB0_9
; %bb.8:
	v_add_u32_e32 v2, 0x200, v32
	ds_read2_b32 v[10:11], v2 offset0:26 offset1:246
	ds_read2_b32 v[8:9], v1 offset0:18 offset1:238
	v_add_u32_e32 v1, 0x1000, v32
	ds_read2_b32 v[23:24], v1 offset0:10 offset1:230
	ds_read_b32 v47, v32 offset:5896
	s_waitcnt lgkmcnt(3)
	v_lshrrev_b32_e32 v27, 16, v10
	v_lshrrev_b32_e32 v29, 16, v11
	s_waitcnt lgkmcnt(2)
	v_lshrrev_b32_e32 v46, 16, v8
	v_lshrrev_b32_e32 v25, 16, v9
	;; [unrolled: 3-line block ×3, first 2 shown]
	s_waitcnt lgkmcnt(0)
	v_lshrrev_b32_e32 v49, 16, v47
.LBB0_9:
	s_or_b64 exec, exec, s[4:5]
	v_lshrrev_b32_e32 v34, 20, v0
	v_mul_lo_u16_e32 v0, 22, v34
	v_sub_u16_e32 v35, v26, v0
	v_mul_lo_u16_e32 v0, 24, v35
	v_mov_b32_e32 v1, s15
	v_add_co_u32_e32 v4, vcc, s14, v0
	v_addc_co_u32_e32 v5, vcc, 0, v1, vcc
	global_load_dwordx4 v[0:3], v[4:5], off offset:44
	global_load_dwordx2 v[13:14], v[4:5], off offset:60
	v_lshrrev_b16_e32 v4, 1, v31
	v_and_b32_e32 v4, 0x7f, v4
	v_mul_lo_u16_e32 v4, 0xbb, v4
	v_lshrrev_b16_e32 v53, 11, v4
	v_mul_lo_u16_e32 v4, 22, v53
	v_sub_u16_e32 v4, v31, v4
	v_and_b32_e32 v54, 0xff, v4
	v_mad_u64_u32 v[51:52], s[4:5], v54, 24, s[14:15]
	global_load_dwordx4 v[4:7], v[51:52], off offset:44
	global_load_dwordx2 v[15:16], v[51:52], off offset:60
	s_waitcnt lgkmcnt(2)
	v_lshrrev_b32_e32 v51, 16, v18
	v_lshrrev_b32_e32 v52, 16, v19
	s_waitcnt lgkmcnt(1)
	v_lshrrev_b32_e32 v57, 16, v22
	s_waitcnt lgkmcnt(0)
	v_lshrrev_b32_e32 v58, 16, v28
	v_lshrrev_b32_e32 v55, 16, v20
	;; [unrolled: 1-line block ×3, first 2 shown]
	s_movk_i32 s4, 0x2b26
	s_movk_i32 s5, 0x3b00
	s_mov_b32 s16, 0xbcab
	s_movk_i32 s17, 0x39e0
	s_mov_b32 s18, 0xb9e0
	;; [unrolled: 2-line block ×3, first 2 shown]
	s_movk_i32 s21, 0x370e
	s_waitcnt vmcnt(0)
	s_barrier
	v_mul_f16_sdwa v59, v29, v0 dst_sel:DWORD dst_unused:UNUSED_PAD src0_sel:DWORD src1_sel:WORD_1
	v_mul_f16_sdwa v60, v11, v0 dst_sel:DWORD dst_unused:UNUSED_PAD src0_sel:DWORD src1_sel:WORD_1
	;; [unrolled: 1-line block ×12, first 2 shown]
	v_fma_f16 v11, v11, v0, -v59
	v_fma_f16 v29, v29, v0, v60
	v_fma_f16 v8, v8, v1, -v61
	v_fma_f16 v46, v46, v1, v62
	;; [unrolled: 2-line block ×4, first 2 shown]
	v_mul_f16_sdwa v59, v51, v4 dst_sel:DWORD dst_unused:UNUSED_PAD src0_sel:DWORD src1_sel:WORD_1
	v_mul_f16_sdwa v60, v18, v4 dst_sel:DWORD dst_unused:UNUSED_PAD src0_sel:DWORD src1_sel:WORD_1
	;; [unrolled: 1-line block ×8, first 2 shown]
	v_fma_f16 v9, v9, v2, -v63
	v_fma_f16 v25, v25, v2, v64
	v_fma_f16 v23, v23, v3, -v65
	v_fma_f16 v50, v50, v3, v66
	v_mul_f16_sdwa v63, v55, v6 dst_sel:DWORD dst_unused:UNUSED_PAD src0_sel:DWORD src1_sel:WORD_1
	v_mul_f16_sdwa v64, v20, v6 dst_sel:DWORD dst_unused:UNUSED_PAD src0_sel:DWORD src1_sel:WORD_1
	;; [unrolled: 1-line block ×4, first 2 shown]
	v_fma_f16 v18, v18, v4, -v59
	v_fma_f16 v51, v51, v4, v60
	v_fma_f16 v19, v19, v5, -v61
	v_fma_f16 v52, v52, v5, v62
	;; [unrolled: 2-line block ×6, first 2 shown]
	v_add_f16_e32 v59, v18, v28
	v_add_f16_e32 v60, v51, v58
	v_sub_f16_e32 v18, v18, v28
	v_sub_f16_e32 v28, v51, v58
	v_add_f16_e32 v51, v19, v22
	v_add_f16_e32 v58, v52, v57
	v_sub_f16_e32 v19, v19, v22
	v_sub_f16_e32 v22, v52, v57
	;; [unrolled: 4-line block ×4, first 2 shown]
	v_sub_f16_e32 v59, v59, v52
	v_sub_f16_e32 v60, v60, v57
	;; [unrolled: 1-line block ×4, first 2 shown]
	v_add_f16_e32 v63, v20, v19
	v_add_f16_e32 v64, v21, v22
	v_sub_f16_e32 v65, v20, v19
	v_sub_f16_e32 v66, v21, v22
	;; [unrolled: 1-line block ×4, first 2 shown]
	v_add_f16_e32 v52, v52, v55
	v_add_f16_e32 v55, v57, v56
	v_sub_f16_e32 v20, v18, v20
	v_sub_f16_e32 v21, v28, v21
	v_add_f16_e32 v18, v63, v18
	v_add_f16_e32 v28, v64, v28
	;; [unrolled: 1-line block ×3, first 2 shown]
	v_add_f16_sdwa v64, v17, v55 dst_sel:DWORD dst_unused:UNUSED_PAD src0_sel:WORD_1 src1_sel:DWORD
	v_mul_f16_e32 v17, 0x3a52, v59
	v_mul_f16_e32 v56, 0x3a52, v60
	v_mul_f16_e32 v57, 0x2b26, v51
	v_mul_f16_e32 v59, 0x2b26, v58
	v_mul_f16_e32 v60, 0xb846, v65
	v_mul_f16_e32 v65, 0xb846, v66
	v_mul_f16_e32 v66, 0x3b00, v19
	v_mul_f16_e32 v67, 0x3b00, v22
	v_fma_f16 v52, v52, s16, v63
	v_fma_f16 v55, v55, s16, v64
	;; [unrolled: 1-line block ×4, first 2 shown]
	v_fma_f16 v57, v61, s17, -v57
	v_fma_f16 v59, v62, s17, -v59
	;; [unrolled: 1-line block ×4, first 2 shown]
	v_fma_f16 v61, v20, s19, v60
	v_fma_f16 v62, v21, s19, v65
	v_fma_f16 v19, v19, s5, -v60
	v_fma_f16 v20, v20, s20, -v66
	;; [unrolled: 1-line block ×4, first 2 shown]
	v_add_f16_e32 v51, v51, v52
	v_add_f16_e32 v58, v58, v55
	;; [unrolled: 1-line block ×6, first 2 shown]
	v_fma_f16 v55, v18, s21, v61
	v_fma_f16 v19, v18, s21, v19
	;; [unrolled: 1-line block ×6, first 2 shown]
	v_add_f16_e32 v61, v20, v17
	v_sub_f16_e32 v62, v52, v18
	v_sub_f16_e32 v68, v17, v20
	v_add_f16_e32 v52, v18, v52
	v_add_f16_e32 v17, v11, v47
	;; [unrolled: 1-line block ×5, first 2 shown]
	v_sub_f16_e32 v65, v57, v22
	v_add_f16_e32 v66, v19, v59
	v_add_f16_e32 v67, v22, v57
	v_sub_f16_e32 v59, v59, v19
	v_sub_f16_e32 v19, v29, v49
	;; [unrolled: 1-line block ×4, first 2 shown]
	v_add_f16_e32 v24, v9, v23
	v_add_f16_e32 v29, v25, v50
	v_sub_f16_e32 v9, v23, v9
	v_sub_f16_e32 v23, v50, v25
	v_add_f16_e32 v25, v20, v17
	v_add_f16_e32 v46, v21, v18
	;; [unrolled: 1-line block ×3, first 2 shown]
	v_sub_f16_e32 v51, v51, v56
	v_sub_f16_e32 v11, v11, v47
	;; [unrolled: 1-line block ×8, first 2 shown]
	v_add_f16_e32 v49, v9, v8
	v_add_f16_e32 v50, v23, v22
	v_sub_f16_e32 v56, v9, v8
	v_add_f16_e32 v24, v24, v25
	v_add_f16_e32 v25, v29, v46
	v_sub_f16_e32 v60, v58, v55
	v_add_f16_e32 v55, v55, v58
	v_sub_f16_e32 v57, v23, v22
	v_sub_f16_e32 v58, v11, v9
	;; [unrolled: 1-line block ×5, first 2 shown]
	v_add_f16_e32 v29, v49, v11
	v_add_f16_e32 v46, v50, v19
	;; [unrolled: 1-line block ×3, first 2 shown]
	v_mul_f16_e32 v11, 0x3a52, v18
	v_mul_f16_e32 v18, 0x2b26, v21
	;; [unrolled: 1-line block ×3, first 2 shown]
	v_add_f16_e32 v8, v10, v24
	v_mul_f16_e32 v10, 0x3a52, v17
	v_mul_f16_e32 v17, 0x2b26, v20
	;; [unrolled: 1-line block ×4, first 2 shown]
	v_fma_f16 v25, v25, s16, v9
	v_fma_f16 v21, v21, s4, v11
	v_fma_f16 v18, v48, s17, -v18
	v_fma_f16 v48, v48, s18, -v11
	;; [unrolled: 1-line block ×3, first 2 shown]
	v_mul_f16_e32 v50, 0x3b00, v22
	v_fma_f16 v24, v24, s16, v8
	v_fma_f16 v20, v20, s4, v10
	v_fma_f16 v17, v47, s17, -v17
	v_fma_f16 v47, v47, s18, -v10
	v_fma_f16 v56, v58, s19, v19
	v_fma_f16 v57, v23, s19, v27
	v_fma_f16 v27, v22, s5, -v27
	v_add_f16_e32 v11, v21, v25
	v_add_f16_e32 v18, v18, v25
	;; [unrolled: 1-line block ×3, first 2 shown]
	v_fma_f16 v25, v29, s21, v69
	v_fma_f16 v50, v23, s20, -v50
	v_add_f16_e32 v10, v20, v24
	v_add_f16_e32 v17, v17, v24
	;; [unrolled: 1-line block ×3, first 2 shown]
	v_fma_f16 v20, v29, s21, v56
	v_fma_f16 v27, v46, s21, v27
	v_add_f16_e32 v56, v25, v18
	v_sub_f16_e32 v47, v18, v25
	v_mul_u32_u24_e32 v25, 0x9a, v53
	v_fma_f16 v21, v46, s21, v57
	v_fma_f16 v24, v46, s21, v50
	v_sub_f16_e32 v57, v17, v27
	v_add_f16_e32 v17, v27, v17
	v_add_lshl_u32 v50, v25, v54, 2
	v_pack_b32_f16 v25, v63, v64
	v_pack_b32_f16 v27, v28, v60
	v_fma_f16 v49, v58, s20, -v49
	ds_write2_b32 v50, v25, v27 offset1:22
	v_pack_b32_f16 v25, v61, v62
	v_pack_b32_f16 v27, v65, v66
	v_fma_f16 v23, v29, s21, v49
	ds_write2_b32 v50, v25, v27 offset0:44 offset1:66
	v_pack_b32_f16 v25, v67, v59
	v_pack_b32_f16 v27, v68, v52
	v_sub_f16_e32 v18, v19, v24
	v_add_f16_e32 v46, v23, v22
	v_sub_f16_e32 v48, v10, v21
	v_add_f16_e32 v49, v20, v11
	ds_write2_b32 v50, v25, v27 offset0:88 offset1:110
	v_pack_b32_f16 v25, v51, v55
	ds_write_b32 v50, v25 offset:528
	s_and_saveexec_b64 s[4:5], s[2:3]
	s_cbranch_execz .LBB0_11
; %bb.10:
	v_sub_f16_e32 v11, v11, v20
	v_mul_u32_u24_e32 v20, 0xba2f, v26
	v_lshrrev_b32_e32 v20, 20, v20
	s_movk_i32 s16, 0x9a
	v_add_f16_e32 v10, v21, v10
	v_mad_legacy_u16 v20, v20, s16, v35
	s_mov_b32 s16, 0x5040100
	v_sub_f16_e32 v22, v22, v23
	v_add_f16_e32 v19, v24, v19
	v_lshlrev_b32_e32 v20, 2, v20
	v_perm_b32 v8, v9, v8, s16
	v_pack_b32_f16 v9, v10, v11
	ds_write2_b32 v20, v8, v9 offset1:22
	v_pack_b32_f16 v8, v19, v22
	v_perm_b32 v9, v56, v57, s16
	ds_write2_b32 v20, v8, v9 offset0:44 offset1:66
	v_perm_b32 v8, v47, v17, s16
	v_perm_b32 v9, v46, v18, s16
	ds_write2_b32 v20, v8, v9 offset0:88 offset1:110
	v_perm_b32 v8, v49, v48, s16
	ds_write_b32 v20, v8 offset:528
.LBB0_11:
	s_or_b64 exec, exec, s[4:5]
	v_lshlrev_b32_e32 v8, 4, v31
	v_add_co_u32_e32 v62, vcc, s14, v8
	v_mov_b32_e32 v9, s15
	s_waitcnt lgkmcnt(0)
	s_barrier
	v_addc_co_u32_e32 v63, vcc, 0, v9, vcc
	global_load_dwordx4 v[8:11], v8, s[14:15] offset:572
	v_add_u32_e32 v68, 0x400, v32
	ds_read2_b32 v[21:22], v68 offset0:52 offset1:206
	v_add_u32_e32 v69, 0x900, v32
	ds_read2_b32 v[23:24], v69 offset0:40 offset1:194
	;; [unrolled: 2-line block ×3, first 2 shown]
	s_waitcnt lgkmcnt(2)
	v_lshrrev_b32_e32 v51, 16, v21
	v_add_u32_e32 v71, 0x1200, v32
	ds_read2_b32 v[27:28], v71 offset0:80 offset1:234
	s_waitcnt lgkmcnt(2)
	v_lshrrev_b32_e32 v52, 16, v23
	s_waitcnt lgkmcnt(1)
	v_lshrrev_b32_e32 v53, 16, v25
	v_lshrrev_b32_e32 v58, 16, v22
	ds_read2_b32 v[19:20], v32 offset1:154
	s_waitcnt lgkmcnt(1)
	v_lshrrev_b32_e32 v54, 16, v27
	v_lshrrev_b32_e32 v59, 16, v24
	;; [unrolled: 1-line block ×4, first 2 shown]
	s_movk_i32 s4, 0x3b9c
	s_mov_b32 s15, 0xbb9c
	s_movk_i32 s5, 0x38b4
	s_mov_b32 s16, 0xb8b4
	s_movk_i32 s14, 0x34f2
	s_waitcnt lgkmcnt(0)
	v_lshrrev_b32_e32 v29, 16, v19
	v_lshrrev_b32_e32 v55, 16, v20
	s_waitcnt vmcnt(0)
	s_barrier
	v_mul_f16_sdwa v64, v51, v8 dst_sel:DWORD dst_unused:UNUSED_PAD src0_sel:DWORD src1_sel:WORD_1
	v_fma_f16 v64, v21, v8, -v64
	v_mul_f16_sdwa v21, v21, v8 dst_sel:DWORD dst_unused:UNUSED_PAD src0_sel:DWORD src1_sel:WORD_1
	v_fma_f16 v21, v51, v8, v21
	v_mul_f16_sdwa v51, v52, v9 dst_sel:DWORD dst_unused:UNUSED_PAD src0_sel:DWORD src1_sel:WORD_1
	v_fma_f16 v51, v23, v9, -v51
	v_mul_f16_sdwa v23, v23, v9 dst_sel:DWORD dst_unused:UNUSED_PAD src0_sel:DWORD src1_sel:WORD_1
	v_fma_f16 v23, v52, v9, v23
	;; [unrolled: 4-line block ×6, first 2 shown]
	v_mul_f16_sdwa v59, v60, v10 dst_sel:DWORD dst_unused:UNUSED_PAD src0_sel:DWORD src1_sel:WORD_1
	v_add_f16_e32 v65, v51, v52
	v_fma_f16 v59, v26, v10, -v59
	v_mul_f16_sdwa v26, v26, v10 dst_sel:DWORD dst_unused:UNUSED_PAD src0_sel:DWORD src1_sel:WORD_1
	v_fma_f16 v65, v65, -0.5, v19
	v_sub_f16_e32 v66, v21, v27
	v_fma_f16 v26, v60, v10, v26
	v_mul_f16_sdwa v60, v61, v11 dst_sel:DWORD dst_unused:UNUSED_PAD src0_sel:DWORD src1_sel:WORD_1
	v_fma_f16 v67, v66, s4, v65
	v_sub_f16_e32 v72, v23, v25
	v_sub_f16_e32 v73, v64, v51
	;; [unrolled: 1-line block ×3, first 2 shown]
	v_fma_f16 v65, v66, s15, v65
	v_fma_f16 v60, v28, v11, -v60
	v_mul_f16_sdwa v28, v28, v11 dst_sel:DWORD dst_unused:UNUSED_PAD src0_sel:DWORD src1_sel:WORD_1
	v_fma_f16 v67, v72, s5, v67
	v_add_f16_e32 v73, v73, v74
	v_fma_f16 v65, v72, s16, v65
	v_fma_f16 v28, v61, v11, v28
	v_add_f16_e32 v61, v19, v64
	v_fma_f16 v67, v73, s14, v67
	v_fma_f16 v65, v73, s14, v65
	v_add_f16_e32 v73, v64, v53
	v_add_f16_e32 v61, v61, v51
	v_fma_f16 v19, v73, -0.5, v19
	v_add_f16_e32 v61, v61, v52
	v_fma_f16 v73, v72, s15, v19
	v_fma_f16 v19, v72, s4, v19
	v_add_f16_e32 v72, v23, v25
	v_add_f16_e32 v61, v61, v53
	v_sub_f16_e32 v74, v51, v64
	v_sub_f16_e32 v75, v52, v53
	v_fma_f16 v72, v72, -0.5, v29
	v_sub_f16_e32 v53, v64, v53
	v_fma_f16 v73, v66, s5, v73
	v_add_f16_e32 v74, v74, v75
	v_fma_f16 v19, v66, s16, v19
	v_fma_f16 v64, v53, s15, v72
	v_sub_f16_e32 v51, v51, v52
	v_fma_f16 v73, v74, s14, v73
	v_fma_f16 v19, v74, s14, v19
	;; [unrolled: 1-line block ×3, first 2 shown]
	v_sub_f16_e32 v64, v21, v23
	v_sub_f16_e32 v74, v27, v25
	v_fma_f16 v72, v53, s4, v72
	v_add_f16_e32 v66, v29, v21
	v_add_f16_e32 v64, v64, v74
	v_fma_f16 v72, v51, s5, v72
	v_add_f16_e32 v66, v66, v23
	v_fma_f16 v52, v64, s14, v52
	v_fma_f16 v64, v64, s14, v72
	v_add_f16_e32 v72, v21, v27
	v_add_f16_e32 v66, v66, v25
	v_fma_f16 v29, v72, -0.5, v29
	v_add_f16_e32 v66, v66, v27
	v_fma_f16 v72, v51, s4, v29
	v_sub_f16_e32 v21, v23, v21
	v_sub_f16_e32 v23, v25, v27
	v_add_f16_e32 v27, v58, v59
	v_fma_f16 v72, v53, s16, v72
	v_add_f16_e32 v21, v21, v23
	v_fma_f16 v25, v51, s15, v29
	v_fma_f16 v27, v27, -0.5, v20
	v_sub_f16_e32 v29, v22, v28
	v_fma_f16 v23, v21, s14, v72
	v_fma_f16 v25, v53, s5, v25
	;; [unrolled: 1-line block ×3, first 2 shown]
	v_sub_f16_e32 v53, v24, v26
	v_sub_f16_e32 v72, v54, v58
	;; [unrolled: 1-line block ×3, first 2 shown]
	v_fma_f16 v27, v29, s15, v27
	v_fma_f16 v51, v53, s5, v51
	v_add_f16_e32 v72, v72, v74
	v_fma_f16 v27, v53, s16, v27
	v_fma_f16 v51, v72, s14, v51
	;; [unrolled: 1-line block ×3, first 2 shown]
	v_add_f16_e32 v72, v54, v60
	v_fma_f16 v21, v21, s14, v25
	v_add_f16_e32 v25, v20, v54
	v_fma_f16 v20, v72, -0.5, v20
	v_add_f16_e32 v25, v25, v58
	v_fma_f16 v72, v53, s15, v20
	v_fma_f16 v20, v53, s4, v20
	v_add_f16_e32 v53, v24, v26
	v_add_f16_e32 v25, v25, v59
	v_sub_f16_e32 v74, v58, v54
	v_sub_f16_e32 v75, v59, v60
	v_fma_f16 v53, v53, -0.5, v55
	v_sub_f16_e32 v54, v54, v60
	v_add_f16_e32 v25, v25, v60
	v_fma_f16 v72, v29, s5, v72
	v_add_f16_e32 v74, v74, v75
	v_fma_f16 v20, v29, s16, v20
	v_fma_f16 v60, v54, s15, v53
	v_sub_f16_e32 v58, v58, v59
	v_fma_f16 v72, v74, s14, v72
	v_fma_f16 v20, v74, s14, v20
	;; [unrolled: 1-line block ×3, first 2 shown]
	v_sub_f16_e32 v60, v22, v24
	v_sub_f16_e32 v74, v28, v26
	v_fma_f16 v53, v54, s4, v53
	v_add_f16_e32 v60, v60, v74
	v_fma_f16 v53, v58, s5, v53
	v_add_f16_e32 v29, v55, v22
	v_fma_f16 v59, v60, s14, v59
	v_fma_f16 v53, v60, s14, v53
	v_add_f16_e32 v60, v22, v28
	v_add_f16_e32 v29, v29, v24
	v_fma_f16 v55, v60, -0.5, v55
	v_add_f16_e32 v29, v29, v26
	v_fma_f16 v60, v58, s4, v55
	v_sub_f16_e32 v22, v24, v22
	v_sub_f16_e32 v24, v26, v28
	v_add_f16_e32 v29, v29, v28
	v_fma_f16 v60, v54, s16, v60
	v_add_f16_e32 v22, v22, v24
	v_fma_f16 v26, v58, s15, v55
	v_pack_b32_f16 v23, v73, v23
	v_pack_b32_f16 v19, v19, v21
	v_fma_f16 v24, v22, s14, v60
	v_fma_f16 v26, v54, s5, v26
	ds_write2_b32 v68, v23, v19 offset0:52 offset1:206
	v_pack_b32_f16 v19, v65, v64
	v_pack_b32_f16 v21, v25, v29
	v_fma_f16 v22, v22, s14, v26
	v_pack_b32_f16 v28, v67, v52
	ds_write2_b32 v69, v19, v21 offset0:40 offset1:194
	v_pack_b32_f16 v19, v51, v59
	v_pack_b32_f16 v21, v72, v24
	v_mul_i32_i24_e32 v52, -12, v31
	ds_write2_b32 v70, v19, v21 offset0:28 offset1:182
	v_pack_b32_f16 v19, v20, v22
	v_pack_b32_f16 v20, v27, v53
	v_mul_hi_i32_i24_e32 v51, -12, v31
	v_add_co_u32_e32 v53, vcc, v62, v52
	v_pack_b32_f16 v26, v61, v66
	v_addc_co_u32_e32 v54, vcc, v63, v51, vcc
	ds_write2_b32 v32, v26, v28 offset1:154
	ds_write2_b32 v71, v19, v20 offset0:80 offset1:234
	s_waitcnt lgkmcnt(0)
	s_barrier
	global_load_dword v51, v[53:54], off offset:3036
	ds_read2_b32 v[27:28], v69 offset0:40 offset1:194
	ds_read2_b32 v[19:20], v70 offset0:28 offset1:182
	s_movk_i32 s14, 0x1000
	ds_read2_b32 v[24:25], v71 offset0:80 offset1:234
	ds_read2_b32 v[22:23], v32 offset1:154
	s_waitcnt lgkmcnt(3)
	v_lshrrev_b32_e32 v26, 16, v28
	s_waitcnt lgkmcnt(2)
	v_lshrrev_b32_e32 v29, 16, v19
	v_lshrrev_b32_e32 v55, 16, v20
	ds_read2_b32 v[64:65], v68 offset0:52 offset1:206
	s_waitcnt lgkmcnt(2)
	v_lshrrev_b32_e32 v58, 16, v24
	v_lshrrev_b32_e32 v59, 16, v25
	s_waitcnt lgkmcnt(1)
	v_lshrrev_b32_e32 v21, 16, v22
	v_lshrrev_b32_e32 v61, 16, v23
	;; [unrolled: 3-line block ×3, first 2 shown]
	v_lshrrev_b32_e32 v72, 16, v27
	s_waitcnt vmcnt(0)
	v_mul_f16_sdwa v52, v26, v51 dst_sel:DWORD dst_unused:UNUSED_PAD src0_sel:DWORD src1_sel:WORD_1
	v_fma_f16 v60, v28, v51, -v52
	global_load_dword v52, v[53:54], off offset:3652
	v_mul_f16_sdwa v28, v28, v51 dst_sel:DWORD dst_unused:UNUSED_PAD src0_sel:DWORD src1_sel:WORD_1
	v_fma_f16 v26, v26, v51, v28
	s_waitcnt vmcnt(0)
	v_mul_f16_sdwa v28, v29, v52 dst_sel:DWORD dst_unused:UNUSED_PAD src0_sel:DWORD src1_sel:WORD_1
	v_fma_f16 v62, v19, v52, -v28
	v_mul_f16_sdwa v19, v19, v52 dst_sel:DWORD dst_unused:UNUSED_PAD src0_sel:DWORD src1_sel:WORD_1
	v_add_co_u32_e32 v28, vcc, s14, v53
	v_fma_f16 v63, v29, v52, v19
	v_addc_co_u32_e32 v29, vcc, 0, v54, vcc
	global_load_dword v53, v[28:29], off offset:172
	global_load_dword v54, v[28:29], off offset:788
	s_waitcnt vmcnt(1)
	v_mul_f16_sdwa v19, v55, v53 dst_sel:DWORD dst_unused:UNUSED_PAD src0_sel:DWORD src1_sel:WORD_1
	v_fma_f16 v73, v20, v53, -v19
	v_mul_f16_sdwa v19, v20, v53 dst_sel:DWORD dst_unused:UNUSED_PAD src0_sel:DWORD src1_sel:WORD_1
	v_fma_f16 v74, v55, v53, v19
	global_load_dword v55, v[28:29], off offset:1404
	s_waitcnt vmcnt(1)
	v_mul_f16_sdwa v19, v58, v54 dst_sel:DWORD dst_unused:UNUSED_PAD src0_sel:DWORD src1_sel:WORD_1
	v_fma_f16 v75, v24, v54, -v19
	v_mul_f16_sdwa v19, v24, v54 dst_sel:DWORD dst_unused:UNUSED_PAD src0_sel:DWORD src1_sel:WORD_1
	v_fma_f16 v76, v58, v54, v19
	v_sub_f16_e32 v20, v22, v60
	v_sub_f16_e32 v58, v21, v26
	;; [unrolled: 1-line block ×3, first 2 shown]
	v_fma_f16 v61, v61, 2.0, -v60
	v_sub_f16_e32 v24, v64, v73
	v_sub_f16_e32 v63, v66, v74
	;; [unrolled: 1-line block ×3, first 2 shown]
	v_pack_b32_f16 v74, v24, v63
	s_waitcnt vmcnt(0)
	v_mul_f16_sdwa v19, v59, v55 dst_sel:DWORD dst_unused:UNUSED_PAD src0_sel:DWORD src1_sel:WORD_1
	v_fma_f16 v28, v25, v55, -v19
	v_mul_f16_sdwa v19, v25, v55 dst_sel:DWORD dst_unused:UNUSED_PAD src0_sel:DWORD src1_sel:WORD_1
	v_fma_f16 v29, v59, v55, v19
	v_fma_f16 v19, v22, 2.0, -v20
	v_sub_f16_e32 v22, v23, v62
	v_fma_f16 v59, v21, 2.0, -v58
	v_fma_f16 v21, v23, 2.0, -v22
	;; [unrolled: 1-line block ×4, first 2 shown]
	v_sub_f16_e32 v64, v67, v76
	v_sub_f16_e32 v66, v72, v29
	v_pack_b32_f16 v29, v19, v59
	v_pack_b32_f16 v73, v21, v61
	v_fma_f16 v25, v65, 2.0, -v26
	v_fma_f16 v65, v67, 2.0, -v64
	v_sub_f16_e32 v28, v27, v28
	ds_write2_b32 v32, v29, v73 offset1:154
	v_pack_b32_f16 v29, v22, v60
	v_fma_f16 v27, v27, 2.0, -v28
	v_fma_f16 v67, v72, 2.0, -v66
	v_pack_b32_f16 v73, v23, v62
	ds_write2_b32 v70, v29, v74 offset0:28 offset1:182
	v_pack_b32_f16 v29, v25, v65
	v_pack_b32_f16 v72, v20, v58
	ds_write2_b32 v68, v73, v29 offset0:52 offset1:206
	v_pack_b32_f16 v68, v27, v67
	;; [unrolled: 3-line block ×3, first 2 shown]
	ds_write2_b32 v71, v29, v68 offset0:80 offset1:234
	s_waitcnt lgkmcnt(0)
	s_barrier
	s_and_saveexec_b64 s[4:5], s[0:1]
	s_cbranch_execz .LBB0_13
; %bb.12:
	v_add_co_u32_e32 v29, vcc, s6, v30
	v_mov_b32_e32 v68, s7
	v_addc_co_u32_e32 v72, vcc, 0, v68, vcc
	v_add_co_u32_e32 v68, vcc, 0x1810, v29
	v_addc_co_u32_e32 v69, vcc, 0, v72, vcc
	v_add_co_u32_e32 v70, vcc, s14, v29
	v_addc_co_u32_e32 v71, vcc, 0, v72, vcc
	global_load_dword v70, v[70:71], off offset:2064
	ds_read_b32 v73, v32
	global_load_dword v75, v[68:69], off offset:560
	s_movk_i32 s14, 0x2000
	s_waitcnt lgkmcnt(0)
	v_lshrrev_b32_e32 v74, 16, v73
	s_waitcnt vmcnt(1)
	v_mul_f16_sdwa v71, v74, v70 dst_sel:DWORD dst_unused:UNUSED_PAD src0_sel:DWORD src1_sel:WORD_1
	v_fma_f16 v71, v73, v70, -v71
	v_mul_f16_sdwa v73, v73, v70 dst_sel:DWORD dst_unused:UNUSED_PAD src0_sel:DWORD src1_sel:WORD_1
	v_fma_f16 v70, v74, v70, v73
	v_pack_b32_f16 v70, v71, v70
	ds_write_b32 v32, v70
	v_add_u32_e32 v73, 0x200, v30
	ds_read2_b32 v[70:71], v73 offset0:12 offset1:152
	s_waitcnt lgkmcnt(0)
	v_lshrrev_b32_e32 v74, 16, v70
	s_waitcnt vmcnt(0)
	v_mul_f16_sdwa v76, v74, v75 dst_sel:DWORD dst_unused:UNUSED_PAD src0_sel:DWORD src1_sel:WORD_1
	v_fma_f16 v76, v70, v75, -v76
	v_mul_f16_sdwa v70, v70, v75 dst_sel:DWORD dst_unused:UNUSED_PAD src0_sel:DWORD src1_sel:WORD_1
	v_fma_f16 v70, v74, v75, v70
	global_load_dword v75, v[68:69], off offset:1120
	v_lshrrev_b32_e32 v74, 16, v71
	v_pack_b32_f16 v70, v76, v70
	s_waitcnt vmcnt(0)
	v_mul_f16_sdwa v76, v74, v75 dst_sel:DWORD dst_unused:UNUSED_PAD src0_sel:DWORD src1_sel:WORD_1
	v_fma_f16 v76, v71, v75, -v76
	v_mul_f16_sdwa v71, v71, v75 dst_sel:DWORD dst_unused:UNUSED_PAD src0_sel:DWORD src1_sel:WORD_1
	v_fma_f16 v71, v74, v75, v71
	global_load_dword v75, v[68:69], off offset:1680
	v_pack_b32_f16 v71, v76, v71
	ds_write2_b32 v73, v70, v71 offset0:12 offset1:152
	v_add_u32_e32 v73, 0x600, v30
	ds_read2_b32 v[70:71], v73 offset0:36 offset1:176
	s_waitcnt lgkmcnt(0)
	v_lshrrev_b32_e32 v74, 16, v70
	s_waitcnt vmcnt(0)
	v_mul_f16_sdwa v76, v74, v75 dst_sel:DWORD dst_unused:UNUSED_PAD src0_sel:DWORD src1_sel:WORD_1
	v_fma_f16 v76, v70, v75, -v76
	v_mul_f16_sdwa v70, v70, v75 dst_sel:DWORD dst_unused:UNUSED_PAD src0_sel:DWORD src1_sel:WORD_1
	v_fma_f16 v70, v74, v75, v70
	global_load_dword v75, v[68:69], off offset:2240
	v_lshrrev_b32_e32 v74, 16, v71
	v_pack_b32_f16 v70, v76, v70
	s_waitcnt vmcnt(0)
	v_mul_f16_sdwa v76, v74, v75 dst_sel:DWORD dst_unused:UNUSED_PAD src0_sel:DWORD src1_sel:WORD_1
	v_fma_f16 v76, v71, v75, -v76
	v_mul_f16_sdwa v71, v71, v75 dst_sel:DWORD dst_unused:UNUSED_PAD src0_sel:DWORD src1_sel:WORD_1
	v_fma_f16 v71, v74, v75, v71
	global_load_dword v75, v[68:69], off offset:2800
	v_pack_b32_f16 v71, v76, v71
	ds_write2_b32 v73, v70, v71 offset0:36 offset1:176
	v_add_u32_e32 v73, 0xa00, v30
	ds_read2_b32 v[70:71], v73 offset0:60 offset1:200
	s_waitcnt lgkmcnt(0)
	v_lshrrev_b32_e32 v74, 16, v70
	s_waitcnt vmcnt(0)
	v_mul_f16_sdwa v76, v74, v75 dst_sel:DWORD dst_unused:UNUSED_PAD src0_sel:DWORD src1_sel:WORD_1
	v_fma_f16 v76, v70, v75, -v76
	v_mul_f16_sdwa v70, v70, v75 dst_sel:DWORD dst_unused:UNUSED_PAD src0_sel:DWORD src1_sel:WORD_1
	v_fma_f16 v70, v74, v75, v70
	global_load_dword v75, v[68:69], off offset:3360
	v_lshrrev_b32_e32 v74, 16, v71
	global_load_dword v68, v[68:69], off offset:3920
	v_pack_b32_f16 v70, v76, v70
	s_waitcnt vmcnt(1)
	v_mul_f16_sdwa v76, v74, v75 dst_sel:DWORD dst_unused:UNUSED_PAD src0_sel:DWORD src1_sel:WORD_1
	v_fma_f16 v76, v71, v75, -v76
	v_mul_f16_sdwa v71, v71, v75 dst_sel:DWORD dst_unused:UNUSED_PAD src0_sel:DWORD src1_sel:WORD_1
	v_fma_f16 v71, v74, v75, v71
	v_pack_b32_f16 v71, v76, v71
	ds_write2_b32 v73, v70, v71 offset0:60 offset1:200
	v_add_u32_e32 v73, 0xe00, v30
	ds_read2_b32 v[70:71], v73 offset0:84 offset1:224
	s_waitcnt lgkmcnt(0)
	v_lshrrev_b32_e32 v74, 16, v70
	s_waitcnt vmcnt(0)
	v_mul_f16_sdwa v69, v74, v68 dst_sel:DWORD dst_unused:UNUSED_PAD src0_sel:DWORD src1_sel:WORD_1
	v_fma_f16 v69, v70, v68, -v69
	v_mul_f16_sdwa v70, v70, v68 dst_sel:DWORD dst_unused:UNUSED_PAD src0_sel:DWORD src1_sel:WORD_1
	v_fma_f16 v68, v74, v68, v70
	v_pack_b32_f16 v70, v69, v68
	v_add_co_u32_e32 v68, vcc, s14, v29
	v_addc_co_u32_e32 v69, vcc, 0, v72, vcc
	global_load_dword v29, v[68:69], off offset:2448
	v_lshrrev_b32_e32 v74, 16, v71
	s_waitcnt vmcnt(0)
	v_mul_f16_sdwa v72, v74, v29 dst_sel:DWORD dst_unused:UNUSED_PAD src0_sel:DWORD src1_sel:WORD_1
	v_fma_f16 v72, v71, v29, -v72
	v_mul_f16_sdwa v71, v71, v29 dst_sel:DWORD dst_unused:UNUSED_PAD src0_sel:DWORD src1_sel:WORD_1
	v_fma_f16 v29, v74, v29, v71
	v_pack_b32_f16 v29, v72, v29
	ds_write2_b32 v73, v70, v29 offset0:84 offset1:224
	global_load_dword v73, v[68:69], off offset:3008
	v_add_u32_e32 v29, 0x1200, v30
	global_load_dword v68, v[68:69], off offset:3568
	ds_read2_b32 v[70:71], v29 offset0:108 offset1:248
	s_waitcnt lgkmcnt(0)
	v_lshrrev_b32_e32 v72, 16, v70
	s_waitcnt vmcnt(1)
	v_mul_f16_sdwa v74, v72, v73 dst_sel:DWORD dst_unused:UNUSED_PAD src0_sel:DWORD src1_sel:WORD_1
	v_fma_f16 v74, v70, v73, -v74
	v_mul_f16_sdwa v70, v70, v73 dst_sel:DWORD dst_unused:UNUSED_PAD src0_sel:DWORD src1_sel:WORD_1
	v_fma_f16 v70, v72, v73, v70
	v_lshrrev_b32_e32 v72, 16, v71
	s_waitcnt vmcnt(0)
	v_mul_f16_sdwa v69, v72, v68 dst_sel:DWORD dst_unused:UNUSED_PAD src0_sel:DWORD src1_sel:WORD_1
	v_fma_f16 v69, v71, v68, -v69
	v_mul_f16_sdwa v71, v71, v68 dst_sel:DWORD dst_unused:UNUSED_PAD src0_sel:DWORD src1_sel:WORD_1
	v_fma_f16 v68, v72, v68, v71
	v_pack_b32_f16 v70, v74, v70
	v_pack_b32_f16 v68, v69, v68
	ds_write2_b32 v29, v70, v68 offset0:108 offset1:248
.LBB0_13:
	s_or_b64 exec, exec, s[4:5]
	s_waitcnt lgkmcnt(0)
	s_barrier
	s_and_saveexec_b64 s[4:5], s[0:1]
	s_cbranch_execz .LBB0_15
; %bb.14:
	v_add_u32_e32 v21, 0x400, v32
	v_add_u32_e32 v23, 0x800, v32
	;; [unrolled: 1-line block ×4, first 2 shown]
	ds_read2_b32 v[19:20], v32 offset1:140
	ds_read2_b32 v[21:22], v21 offset0:24 offset1:164
	ds_read2_b32 v[23:24], v23 offset0:48 offset1:188
	;; [unrolled: 1-line block ×4, first 2 shown]
	ds_read_b32 v57, v32 offset:5600
	s_waitcnt lgkmcnt(5)
	v_lshrrev_b32_e32 v59, 16, v19
	v_lshrrev_b32_e32 v58, 16, v20
	s_waitcnt lgkmcnt(4)
	v_lshrrev_b32_e32 v61, 16, v21
	v_lshrrev_b32_e32 v60, 16, v22
	;; [unrolled: 3-line block ×5, first 2 shown]
	s_waitcnt lgkmcnt(0)
	v_lshrrev_b32_e32 v56, 16, v57
.LBB0_15:
	s_or_b64 exec, exec, s[4:5]
	v_sub_f16_e32 v89, v58, v56
	v_add_f16_e32 v72, v57, v20
	v_add_f16_e32 v76, v56, v58
	s_movk_i32 s14, 0x3abb
	v_mul_f16_e32 v69, 0xb853, v89
	v_sub_f16_e32 v90, v61, v66
	v_sub_f16_e32 v91, v20, v57
	s_mov_b32 s4, 0xb853
	v_mul_f16_e32 v71, 0x3abb, v76
	v_fma_f16 v29, v72, s14, -v69
	v_add_f16_e32 v75, v28, v21
	v_add_f16_e32 v80, v66, v61
	s_movk_i32 s15, 0x36a6
	v_mul_f16_e32 v70, 0xbb47, v90
	v_add_f16_e32 v29, v19, v29
	v_fma_f16 v68, v91, s4, v71
	v_sub_f16_e32 v93, v21, v28
	s_mov_b32 s4, 0xbb47
	v_mul_f16_e32 v74, 0x36a6, v80
	v_fma_f16 v73, v75, s15, -v70
	v_add_f16_e32 v68, v59, v68
	v_add_f16_e32 v29, v73, v29
	v_fma_f16 v73, v93, s4, v74
	v_sub_f16_e32 v92, v60, v67
	v_add_f16_e32 v68, v73, v68
	v_add_f16_e32 v79, v27, v22
	v_add_f16_e32 v84, v67, v60
	s_mov_b32 s16, 0xb08e
	v_mul_f16_e32 v73, 0xbbeb, v92
	v_sub_f16_e32 v95, v22, v27
	s_mov_b32 s4, 0xbbeb
	v_mul_f16_e32 v78, 0xb08e, v84
	v_fma_f16 v77, v79, s16, -v73
	v_add_f16_e32 v29, v77, v29
	v_fma_f16 v77, v95, s4, v78
	v_sub_f16_e32 v94, v62, v64
	v_add_f16_e32 v68, v77, v68
	v_add_f16_e32 v83, v26, v23
	v_add_f16_e32 v87, v64, v62
	s_mov_b32 s17, 0xb93d
	v_mul_f16_e32 v77, 0xba0c, v94
	v_sub_f16_e32 v97, v23, v26
	s_mov_b32 s4, 0xba0c
	v_mul_f16_e32 v82, 0xb93d, v87
	v_fma_f16 v81, v83, s17, -v77
	;; [unrolled: 12-line block ×3, first 2 shown]
	v_add_f16_e32 v29, v99, v29
	v_fma_f16 v99, v98, s4, v85
	v_add_f16_e32 v68, v99, v68
	s_barrier
	s_and_saveexec_b64 s[4:5], s[0:1]
	s_cbranch_execz .LBB0_17
; %bb.16:
	v_mul_f16_e32 v109, 0xbb47, v91
	v_fma_f16 v110, v76, s15, v109
	v_mul_f16_e32 v111, 0xba0c, v93
	v_add_f16_e32 v110, v59, v110
	v_fma_f16 v112, v80, s17, v111
	v_add_f16_e32 v110, v112, v110
	v_mul_f16_e32 v112, 0x3482, v95
	v_fma_f16 v113, v84, s18, v112
	v_add_f16_e32 v110, v113, v110
	v_mul_f16_e32 v113, 0x3beb, v97
	;; [unrolled: 3-line block ×4, first 2 shown]
	v_fma_f16 v116, v72, s15, -v115
	v_mul_f16_e32 v117, 0xba0c, v90
	v_add_f16_e32 v116, v19, v116
	v_fma_f16 v118, v75, s17, -v117
	v_add_f16_e32 v116, v118, v116
	v_mul_f16_e32 v118, 0x3482, v92
	v_fma_f16 v119, v79, s18, -v118
	v_add_f16_e32 v116, v119, v116
	v_mul_f16_e32 v119, 0x3beb, v94
	;; [unrolled: 3-line block ×4, first 2 shown]
	v_fma_f16 v122, v76, s16, v121
	v_mul_f16_e32 v123, 0x3482, v93
	v_add_f16_e32 v122, v59, v122
	v_fma_f16 v124, v80, s18, v123
	v_add_f16_e32 v122, v124, v122
	v_mul_f16_e32 v124, 0x3b47, v95
	v_fma_f16 v125, v84, s15, v124
	v_add_f16_e32 v122, v125, v122
	v_mul_f16_e32 v125, 0xb853, v97
	;; [unrolled: 3-line block ×4, first 2 shown]
	v_fma_f16 v128, v72, s16, -v127
	v_mul_f16_e32 v129, 0x3482, v90
	v_add_f16_e32 v128, v19, v128
	v_fma_f16 v130, v75, s18, -v129
	v_add_f16_e32 v128, v130, v128
	v_mul_f16_e32 v130, 0x3b47, v92
	v_fma_f16 v131, v79, s15, -v130
	v_add_f16_e32 v128, v131, v128
	v_mul_f16_e32 v131, 0xb853, v94
	;; [unrolled: 3-line block ×4, first 2 shown]
	v_fma_f16 v134, v76, s17, v133
	v_mul_f16_e32 v135, 0x3beb, v93
	v_add_f16_e32 v134, v59, v134
	v_fma_f16 v136, v80, s16, v135
	v_add_f16_e32 v134, v136, v134
	v_mul_f16_e32 v136, 0xb853, v95
	v_fma_f16 v137, v84, s14, v136
	v_add_f16_e32 v134, v137, v134
	v_mul_f16_e32 v137, 0xb482, v97
	;; [unrolled: 3-line block ×4, first 2 shown]
	v_fma_f16 v140, v72, s17, -v139
	v_mul_f16_e32 v141, 0x3beb, v90
	v_add_f16_e32 v140, v19, v140
	v_fma_f16 v142, v75, s16, -v141
	v_add_f16_e32 v140, v142, v140
	v_mul_f16_e32 v142, 0xb853, v92
	v_fma_f16 v143, v79, s14, -v142
	v_add_f16_e32 v140, v143, v140
	v_mul_f16_e32 v143, 0xb482, v94
	;; [unrolled: 3-line block ×3, first 2 shown]
	v_mul_f16_e32 v100, 0xb853, v91
	v_fma_f16 v145, v86, s15, -v144
	v_mul_f16_e32 v91, 0xb482, v91
	v_mul_f16_e32 v102, 0xbb47, v93
	v_add_f16_e32 v140, v145, v140
	v_fma_f16 v145, v76, s18, v91
	v_mul_f16_e32 v93, 0x3853, v93
	v_mul_f16_e32 v104, 0xbbeb, v95
	v_add_f16_e32 v145, v59, v145
	v_fma_f16 v146, v80, s14, v93
	;; [unrolled: 4-line block ×4, first 2 shown]
	v_mul_f16_e32 v98, 0xbbeb, v98
	v_add_f16_e32 v145, v146, v145
	v_fma_f16 v146, v88, s16, v98
	v_mul_f16_e32 v89, 0xb482, v89
	v_add_f16_e32 v145, v146, v145
	v_fma_f16 v146, v72, s18, -v89
	v_mul_f16_e32 v90, 0x3853, v90
	v_fma_f16 v89, v72, s18, v89
	v_fma_f16 v147, v75, s14, -v90
	v_mul_f16_e32 v92, 0xba0c, v92
	v_add_f16_e32 v89, v19, v89
	v_fma_f16 v90, v75, s14, v90
	v_mul_f16_e32 v94, 0x3b47, v94
	v_add_f16_e32 v89, v90, v89
	v_fma_f16 v90, v79, s17, v92
	;; [unrolled: 3-line block ×3, first 2 shown]
	v_add_f16_e32 v89, v90, v89
	v_fma_f16 v90, v86, s16, v96
	v_add_f16_e32 v146, v19, v146
	v_add_f16_e32 v89, v90, v89
	v_fma_f16 v90, v76, s17, -v133
	v_add_f16_e32 v146, v147, v146
	v_fma_f16 v147, v79, s17, -v92
	v_fma_f16 v91, v76, s18, -v91
	v_add_f16_e32 v90, v59, v90
	v_fma_f16 v92, v80, s16, -v135
	v_add_f16_e32 v91, v59, v91
	;; [unrolled: 2-line block ×9, first 2 shown]
	v_fma_f16 v92, v72, s17, v139
	v_add_f16_e32 v91, v93, v91
	v_add_f16_e32 v92, v19, v92
	v_fma_f16 v93, v75, s16, v141
	v_add_f16_e32 v92, v93, v92
	v_fma_f16 v93, v79, s14, v142
	;; [unrolled: 2-line block ×4, first 2 shown]
	v_add_f16_e32 v92, v93, v92
	v_fma_f16 v93, v76, s16, -v121
	v_add_f16_e32 v146, v147, v146
	v_fma_f16 v147, v83, s15, -v94
	;; [unrolled: 2-line block ×5, first 2 shown]
	v_mul_f16_e32 v99, 0x3abb, v72
	v_add_f16_e32 v93, v94, v93
	v_fma_f16 v94, v88, s17, -v126
	v_add_f16_e32 v93, v94, v93
	v_fma_f16 v94, v72, s16, v127
	v_fma_f16 v72, v72, s15, v115
	v_add_f16_e32 v69, v99, v69
	v_add_f16_e32 v94, v19, v94
	;; [unrolled: 1-line block ×12, first 2 shown]
	v_mul_f16_e32 v101, 0x36a6, v75
	v_sub_f16_e32 v71, v71, v100
	v_add_f16_e32 v19, v24, v19
	v_add_f16_e32 v20, v63, v20
	v_mul_f16_e32 v103, 0xb08e, v79
	v_fma_f16 v76, v76, s15, -v109
	v_add_f16_e32 v71, v59, v71
	v_sub_f16_e32 v74, v74, v102
	v_add_f16_e32 v70, v101, v70
	v_add_f16_e32 v19, v25, v19
	;; [unrolled: 1-line block ×3, first 2 shown]
	v_mul_f16_e32 v105, 0xb93d, v83
	v_fma_f16 v95, v75, s18, v129
	v_add_f16_e32 v76, v59, v76
	v_fma_f16 v80, v80, s17, -v111
	v_fma_f16 v75, v75, s17, v117
	v_add_f16_e32 v71, v74, v71
	v_sub_f16_e32 v74, v78, v104
	v_add_f16_e32 v69, v70, v69
	v_add_f16_e32 v70, v103, v73
	;; [unrolled: 1-line block ×4, first 2 shown]
	v_mul_f16_e32 v107, 0xbbad, v86
	v_add_f16_e32 v94, v95, v94
	v_fma_f16 v95, v79, s15, v130
	v_add_f16_e32 v76, v80, v76
	v_fma_f16 v80, v84, s18, -v112
	v_add_f16_e32 v72, v75, v72
	v_fma_f16 v75, v79, s18, v118
	v_add_f16_e32 v71, v74, v71
	v_sub_f16_e32 v74, v82, v106
	v_add_f16_e32 v69, v70, v69
	v_add_f16_e32 v70, v105, v77
	;; [unrolled: 1-line block ×5, first 2 shown]
	v_fma_f16 v95, v83, s14, v131
	v_add_f16_e32 v76, v80, v76
	v_fma_f16 v80, v87, s16, -v113
	v_add_f16_e32 v72, v75, v72
	v_fma_f16 v75, v83, s16, v119
	v_add_f16_e32 v71, v74, v71
	v_sub_f16_e32 v74, v85, v108
	v_add_f16_e32 v69, v70, v69
	v_add_f16_e32 v70, v107, v81
	;; [unrolled: 1-line block ×5, first 2 shown]
	v_fma_f16 v95, v86, s17, v132
	v_add_f16_e32 v76, v80, v76
	v_fma_f16 v80, v88, s14, -v114
	v_add_f16_e32 v72, v75, v72
	v_fma_f16 v75, v86, s14, v120
	v_add_f16_e32 v71, v74, v71
	v_add_f16_e32 v69, v70, v69
	;; [unrolled: 1-line block ×7, first 2 shown]
	v_lshlrev_b32_e32 v21, 2, v33
	v_pack_b32_f16 v22, v69, v71
	v_pack_b32_f16 v19, v19, v20
	v_add_f16_e32 v146, v147, v146
	v_fma_f16 v147, v86, s16, -v96
	ds_write2_b32 v21, v19, v22 offset1:1
	v_pack_b32_f16 v19, v94, v93
	v_pack_b32_f16 v20, v72, v76
	v_add_f16_e32 v146, v147, v146
	ds_write2_b32 v21, v20, v19 offset0:2 offset1:3
	v_pack_b32_f16 v19, v89, v91
	v_pack_b32_f16 v20, v92, v90
	ds_write2_b32 v21, v20, v19 offset0:4 offset1:5
	v_pack_b32_f16 v19, v140, v134
	v_pack_b32_f16 v20, v146, v145
	;; [unrolled: 3-line block ×3, first 2 shown]
	s_mov_b32 s14, 0x5040100
	ds_write2_b32 v21, v20, v19 offset0:8 offset1:9
	v_perm_b32 v19, v68, v29, s14
	ds_write_b32 v21, v19 offset:40
.LBB0_17:
	s_or_b64 exec, exec, s[4:5]
	v_add_u32_e32 v56, 0x900, v32
	s_waitcnt lgkmcnt(0)
	s_barrier
	ds_read2_b32 v[21:22], v56 offset0:40 offset1:194
	v_add_u32_e32 v23, 0xe00, v32
	ds_read2_b32 v[23:24], v23 offset0:28 offset1:182
	v_add_u32_e32 v27, 0x1200, v32
	ds_read2_b32 v[27:28], v27 offset0:80 offset1:234
	s_waitcnt lgkmcnt(2)
	v_lshrrev_b32_e32 v57, 16, v22
	v_mul_f16_sdwa v66, v40, v57 dst_sel:DWORD dst_unused:UNUSED_PAD src0_sel:WORD_1 src1_sel:DWORD
	s_waitcnt lgkmcnt(1)
	v_lshrrev_b32_e32 v59, 16, v23
	v_fma_f16 v66, v40, v22, v66
	v_mul_f16_sdwa v22, v40, v22 dst_sel:DWORD dst_unused:UNUSED_PAD src0_sel:WORD_1 src1_sel:DWORD
	v_fma_f16 v22, v40, v57, -v22
	v_mul_f16_sdwa v40, v39, v59 dst_sel:DWORD dst_unused:UNUSED_PAD src0_sel:WORD_1 src1_sel:DWORD
	ds_read2_b32 v[19:20], v32 offset1:154
	v_lshrrev_b32_e32 v61, 16, v24
	v_fma_f16 v40, v39, v23, v40
	v_mul_f16_sdwa v23, v39, v23 dst_sel:DWORD dst_unused:UNUSED_PAD src0_sel:WORD_1 src1_sel:DWORD
	v_add_u32_e32 v25, 0x400, v32
	v_fma_f16 v23, v39, v59, -v23
	v_mul_f16_sdwa v39, v38, v61 dst_sel:DWORD dst_unused:UNUSED_PAD src0_sel:WORD_1 src1_sel:DWORD
	ds_read2_b32 v[25:26], v25 offset0:52 offset1:206
	s_waitcnt lgkmcnt(2)
	v_lshrrev_b32_e32 v63, 16, v27
	v_fma_f16 v39, v38, v24, v39
	v_mul_f16_sdwa v24, v38, v24 dst_sel:DWORD dst_unused:UNUSED_PAD src0_sel:WORD_1 src1_sel:DWORD
	v_fma_f16 v24, v38, v61, -v24
	v_mul_f16_sdwa v38, v37, v63 dst_sel:DWORD dst_unused:UNUSED_PAD src0_sel:WORD_1 src1_sel:DWORD
	v_lshrrev_b32_e32 v65, 16, v28
	v_fma_f16 v38, v37, v27, v38
	v_mul_f16_sdwa v27, v37, v27 dst_sel:DWORD dst_unused:UNUSED_PAD src0_sel:WORD_1 src1_sel:DWORD
	s_waitcnt lgkmcnt(1)
	v_lshrrev_b32_e32 v33, 16, v19
	v_fma_f16 v27, v37, v63, -v27
	v_mul_f16_sdwa v37, v36, v65 dst_sel:DWORD dst_unused:UNUSED_PAD src0_sel:WORD_1 src1_sel:DWORD
	v_lshrrev_b32_e32 v58, 16, v20
	v_fma_f16 v37, v36, v28, v37
	v_mul_f16_sdwa v28, v36, v28 dst_sel:DWORD dst_unused:UNUSED_PAD src0_sel:WORD_1 src1_sel:DWORD
	v_sub_f16_e32 v57, v19, v66
	v_sub_f16_e32 v22, v33, v22
	s_waitcnt lgkmcnt(0)
	v_lshrrev_b32_e32 v60, 16, v25
	v_fma_f16 v36, v36, v65, -v28
	v_fma_f16 v59, v19, 2.0, -v57
	v_fma_f16 v61, v33, 2.0, -v22
	v_sub_f16_e32 v40, v20, v40
	v_sub_f16_e32 v23, v58, v23
	;; [unrolled: 1-line block ×3, first 2 shown]
	v_lshrrev_b32_e32 v62, 16, v26
	v_lshrrev_b32_e32 v64, 16, v21
	v_fma_f16 v63, v20, 2.0, -v40
	v_fma_f16 v58, v58, 2.0, -v23
	v_sub_f16_e32 v39, v25, v39
	v_sub_f16_e32 v24, v60, v24
	v_fma_f16 v20, v21, 2.0, -v28
	v_pack_b32_f16 v21, v59, v61
	v_pack_b32_f16 v22, v57, v22
	v_fma_f16 v25, v25, 2.0, -v39
	v_fma_f16 v60, v60, 2.0, -v24
	v_sub_f16_e32 v19, v26, v38
	v_sub_f16_e32 v27, v62, v27
	s_barrier
	ds_write2_b32 v41, v21, v22 offset1:11
	v_pack_b32_f16 v21, v63, v58
	v_pack_b32_f16 v22, v40, v23
	v_fma_f16 v26, v26, 2.0, -v19
	v_fma_f16 v38, v62, 2.0, -v27
	v_sub_f16_e32 v33, v64, v36
	ds_write2_b32 v42, v21, v22 offset1:11
	v_pack_b32_f16 v21, v25, v60
	v_pack_b32_f16 v22, v39, v24
	v_fma_f16 v36, v64, 2.0, -v33
	ds_write2_b32 v43, v21, v22 offset1:11
	v_pack_b32_f16 v21, v26, v38
	v_pack_b32_f16 v22, v19, v27
	ds_write2_b32 v44, v21, v22 offset1:11
	v_pack_b32_f16 v21, v20, v36
	v_pack_b32_f16 v22, v28, v33
	v_add_u32_e32 v23, 0x680, v32
	ds_write2_b32 v45, v21, v22 offset1:11
	s_waitcnt lgkmcnt(0)
	s_barrier
	ds_read2_b32 v[25:26], v23 offset0:24 offset1:244
	v_add_u32_e32 v23, 0xd80, v32
	ds_read2_b32 v[21:22], v32 offset1:220
	ds_read2_b32 v[23:24], v23 offset0:16 offset1:236
	ds_read_b32 v37, v32 offset:5280
	s_and_saveexec_b64 s[4:5], s[2:3]
	s_cbranch_execz .LBB0_19
; %bb.18:
	v_add_u32_e32 v17, 0x200, v32
	ds_read2_b32 v[19:20], v17 offset0:26 offset1:246
	ds_read2_b32 v[28:29], v56 offset0:18 offset1:238
	v_add_u32_e32 v17, 0x1000, v32
	ds_read2_b32 v[17:18], v17 offset0:10 offset1:230
	ds_read_b32 v48, v32 offset:5896
	s_waitcnt lgkmcnt(3)
	v_lshrrev_b32_e32 v27, 16, v19
	v_lshrrev_b32_e32 v36, 16, v20
	s_waitcnt lgkmcnt(2)
	v_lshrrev_b32_e32 v33, 16, v28
	v_lshrrev_b32_e32 v68, 16, v29
	;; [unrolled: 3-line block ×3, first 2 shown]
	s_waitcnt lgkmcnt(0)
	v_lshrrev_b32_e32 v49, 16, v48
.LBB0_19:
	s_or_b64 exec, exec, s[4:5]
	s_waitcnt lgkmcnt(2)
	v_lshrrev_b32_e32 v38, 16, v22
	v_mul_f16_sdwa v44, v4, v38 dst_sel:DWORD dst_unused:UNUSED_PAD src0_sel:WORD_1 src1_sel:DWORD
	v_lshrrev_b32_e32 v39, 16, v25
	v_fma_f16 v44, v4, v22, v44
	v_mul_f16_sdwa v22, v4, v22 dst_sel:DWORD dst_unused:UNUSED_PAD src0_sel:WORD_1 src1_sel:DWORD
	v_fma_f16 v4, v4, v38, -v22
	v_mul_f16_sdwa v22, v5, v39 dst_sel:DWORD dst_unused:UNUSED_PAD src0_sel:WORD_1 src1_sel:DWORD
	v_lshrrev_b32_e32 v40, 16, v26
	v_fma_f16 v22, v5, v25, v22
	v_mul_f16_sdwa v25, v5, v25 dst_sel:DWORD dst_unused:UNUSED_PAD src0_sel:WORD_1 src1_sel:DWORD
	v_fma_f16 v5, v5, v39, -v25
	v_mul_f16_sdwa v25, v6, v40 dst_sel:DWORD dst_unused:UNUSED_PAD src0_sel:WORD_1 src1_sel:DWORD
	s_waitcnt lgkmcnt(1)
	v_lshrrev_b32_e32 v41, 16, v23
	v_fma_f16 v25, v6, v26, v25
	v_mul_f16_sdwa v26, v6, v26 dst_sel:DWORD dst_unused:UNUSED_PAD src0_sel:WORD_1 src1_sel:DWORD
	v_fma_f16 v6, v6, v40, -v26
	v_mul_f16_sdwa v26, v7, v41 dst_sel:DWORD dst_unused:UNUSED_PAD src0_sel:WORD_1 src1_sel:DWORD
	v_lshrrev_b32_e32 v42, 16, v24
	v_fma_f16 v26, v7, v23, v26
	v_mul_f16_sdwa v23, v7, v23 dst_sel:DWORD dst_unused:UNUSED_PAD src0_sel:WORD_1 src1_sel:DWORD
	v_fma_f16 v7, v7, v41, -v23
	v_mul_f16_sdwa v23, v15, v42 dst_sel:DWORD dst_unused:UNUSED_PAD src0_sel:WORD_1 src1_sel:DWORD
	s_waitcnt lgkmcnt(0)
	v_lshrrev_b32_e32 v43, 16, v37
	v_fma_f16 v23, v15, v24, v23
	v_mul_f16_sdwa v24, v15, v24 dst_sel:DWORD dst_unused:UNUSED_PAD src0_sel:WORD_1 src1_sel:DWORD
	v_fma_f16 v15, v15, v42, -v24
	v_mul_f16_sdwa v24, v16, v43 dst_sel:DWORD dst_unused:UNUSED_PAD src0_sel:WORD_1 src1_sel:DWORD
	v_fma_f16 v24, v16, v37, v24
	v_mul_f16_sdwa v37, v16, v37 dst_sel:DWORD dst_unused:UNUSED_PAD src0_sel:WORD_1 src1_sel:DWORD
	v_fma_f16 v16, v16, v43, -v37
	v_add_f16_e32 v37, v44, v24
	v_add_f16_e32 v38, v4, v16
	v_sub_f16_e32 v4, v4, v16
	v_add_f16_e32 v16, v22, v23
	v_add_f16_e32 v39, v5, v15
	v_sub_f16_e32 v24, v44, v24
	v_sub_f16_e32 v22, v22, v23
	;; [unrolled: 1-line block ×3, first 2 shown]
	v_add_f16_e32 v15, v25, v26
	v_add_f16_e32 v23, v6, v7
	v_sub_f16_e32 v25, v26, v25
	v_sub_f16_e32 v6, v7, v6
	v_add_f16_e32 v7, v16, v37
	v_add_f16_e32 v26, v39, v38
	v_sub_f16_e32 v40, v16, v37
	v_sub_f16_e32 v41, v39, v38
	;; [unrolled: 1-line block ×6, first 2 shown]
	v_add_f16_e32 v42, v25, v22
	v_add_f16_e32 v43, v6, v5
	v_sub_f16_e32 v44, v25, v22
	v_sub_f16_e32 v45, v6, v5
	;; [unrolled: 1-line block ×4, first 2 shown]
	v_add_f16_e32 v7, v15, v7
	v_add_f16_e32 v15, v23, v26
	v_sub_f16_e32 v25, v24, v25
	v_sub_f16_e32 v6, v4, v6
	v_add_f16_e32 v23, v42, v24
	v_add_f16_e32 v4, v43, v4
	;; [unrolled: 1-line block ×3, first 2 shown]
	v_add_f16_sdwa v21, v21, v15 dst_sel:DWORD dst_unused:UNUSED_PAD src0_sel:WORD_1 src1_sel:DWORD
	v_mul_f16_e32 v26, 0x3a52, v37
	v_mul_f16_e32 v37, 0x3a52, v38
	s_movk_i32 s19, 0x2b26
	v_mul_f16_e32 v38, 0x2b26, v16
	v_mul_f16_e32 v42, 0x2b26, v39
	;; [unrolled: 1-line block ×4, first 2 shown]
	s_mov_b32 s14, 0xbb00
	v_mul_f16_e32 v45, 0xbb00, v22
	v_mul_f16_e32 v56, 0xbb00, v5
	s_mov_b32 s20, 0xbcab
	s_movk_i32 s15, 0x39e0
	s_mov_b32 s16, 0xb9e0
	s_mov_b32 s21, 0xb574
	s_movk_i32 s17, 0x3574
	v_fma_f16 v7, v7, s20, v24
	v_fma_f16 v15, v15, s20, v21
	;; [unrolled: 1-line block ×4, first 2 shown]
	v_fma_f16 v38, v40, s15, -v38
	v_fma_f16 v42, v41, s15, -v42
	;; [unrolled: 1-line block ×4, first 2 shown]
	v_fma_f16 v40, v25, s21, v43
	v_fma_f16 v41, v6, s21, v44
	v_fma_f16 v22, v22, s14, -v43
	v_fma_f16 v5, v5, s14, -v44
	;; [unrolled: 1-line block ×4, first 2 shown]
	s_mov_b32 s18, 0xb70e
	v_add_f16_e32 v16, v16, v7
	v_add_f16_e32 v39, v39, v15
	;; [unrolled: 1-line block ×6, first 2 shown]
	v_fma_f16 v26, v23, s18, v40
	v_fma_f16 v37, v4, s18, v41
	;; [unrolled: 1-line block ×6, first 2 shown]
	v_add_f16_e32 v6, v37, v16
	v_sub_f16_e32 v25, v39, v26
	v_add_f16_e32 v40, v4, v7
	v_sub_f16_e32 v43, v38, v5
	v_add_f16_e32 v44, v22, v42
	v_add_f16_e32 v5, v5, v38
	v_sub_f16_e32 v22, v42, v22
	v_sub_f16_e32 v4, v7, v4
	v_add_f16_e32 v7, v23, v15
	v_sub_f16_e32 v41, v15, v23
	v_sub_f16_e32 v15, v16, v37
	v_add_f16_e32 v16, v26, v39
	v_pack_b32_f16 v21, v24, v21
	v_pack_b32_f16 v6, v6, v25
	;; [unrolled: 1-line block ×4, first 2 shown]
	s_barrier
	ds_write2_b32 v50, v21, v6 offset1:22
	v_pack_b32_f16 v6, v40, v41
	v_pack_b32_f16 v21, v43, v44
	ds_write2_b32 v50, v5, v4 offset0:88 offset1:110
	v_pack_b32_f16 v4, v15, v16
	ds_write2_b32 v50, v6, v21 offset0:44 offset1:66
	ds_write_b32 v50, v4 offset:528
	s_and_saveexec_b64 s[4:5], s[2:3]
	s_cbranch_execz .LBB0_21
; %bb.20:
	v_mul_f16_sdwa v23, v13, v46 dst_sel:DWORD dst_unused:UNUSED_PAD src0_sel:WORD_1 src1_sel:DWORD
	v_mul_f16_sdwa v4, v0, v36 dst_sel:DWORD dst_unused:UNUSED_PAD src0_sel:WORD_1 src1_sel:DWORD
	;; [unrolled: 1-line block ×4, first 2 shown]
	v_fma_f16 v23, v13, v18, v23
	v_mul_f16_sdwa v18, v13, v18 dst_sel:DWORD dst_unused:UNUSED_PAD src0_sel:WORD_1 src1_sel:DWORD
	v_fma_f16 v4, v0, v20, v4
	v_mul_f16_sdwa v5, v14, v49 dst_sel:DWORD dst_unused:UNUSED_PAD src0_sel:WORD_1 src1_sel:DWORD
	v_fma_f16 v7, v3, v17, v7
	v_fma_f16 v15, v2, v29, v15
	v_mul_f16_sdwa v22, v1, v33 dst_sel:DWORD dst_unused:UNUSED_PAD src0_sel:WORD_1 src1_sel:DWORD
	v_mul_f16_sdwa v37, v14, v48 dst_sel:DWORD dst_unused:UNUSED_PAD src0_sel:WORD_1 src1_sel:DWORD
	;; [unrolled: 1-line block ×5, first 2 shown]
	v_fma_f16 v13, v13, v46, -v18
	v_mul_f16_sdwa v18, v1, v28 dst_sel:DWORD dst_unused:UNUSED_PAD src0_sel:WORD_1 src1_sel:DWORD
	v_fma_f16 v5, v14, v48, v5
	v_fma_f16 v22, v1, v28, v22
	v_fma_f16 v14, v14, v49, -v37
	v_fma_f16 v0, v0, v36, -v20
	;; [unrolled: 1-line block ×5, first 2 shown]
	v_add_f16_e32 v20, v14, v0
	v_add_f16_e32 v17, v2, v3
	;; [unrolled: 1-line block ×3, first 2 shown]
	v_sub_f16_e32 v0, v0, v14
	v_sub_f16_e32 v2, v3, v2
	;; [unrolled: 1-line block ×6, first 2 shown]
	v_add_f16_e32 v4, v5, v4
	v_add_f16_e32 v5, v15, v7
	;; [unrolled: 1-line block ×3, first 2 shown]
	v_sub_f16_e32 v3, v0, v2
	v_sub_f16_e32 v13, v2, v1
	v_add_f16_e32 v2, v2, v1
	v_sub_f16_e32 v21, v6, v16
	v_sub_f16_e32 v25, v16, v24
	v_add_f16_e32 v16, v16, v24
	v_add_f16_e32 v36, v18, v20
	;; [unrolled: 1-line block ×4, first 2 shown]
	v_sub_f16_e32 v0, v1, v0
	v_add_f16_e32 v16, v16, v6
	v_sub_f16_e32 v29, v20, v17
	v_sub_f16_e32 v28, v17, v18
	v_add_f16_e32 v17, v17, v36
	v_sub_f16_e32 v7, v4, v5
	v_sub_f16_e32 v22, v5, v15
	v_add_f16_e32 v5, v5, v37
	v_mul_f16_e32 v13, 0x3846, v13
	v_sub_f16_e32 v6, v24, v6
	v_mul_f16_e32 v1, 0xbb00, v0
	v_mul_f16_e32 v25, 0x3846, v25
	;; [unrolled: 1-line block ×4, first 2 shown]
	v_add_f16_e32 v27, v27, v17
	v_mul_f16_e32 v7, 0x3a52, v7
	v_mul_f16_e32 v23, 0x2b26, v22
	v_add_f16_e32 v19, v19, v5
	v_fma_f16 v14, v3, s21, v13
	v_mul_f16_e32 v24, 0xbb00, v6
	v_sub_f16_e32 v18, v18, v20
	v_sub_f16_e32 v4, v15, v4
	v_fma_f16 v1, v3, s17, -v1
	v_fma_f16 v0, v0, s14, -v13
	v_fma_f16 v26, v21, s21, v25
	v_fma_f16 v17, v17, s20, v27
	;; [unrolled: 1-line block ×5, first 2 shown]
	v_fma_f16 v21, v21, s17, -v24
	v_fma_f16 v20, v18, s16, -v29
	;; [unrolled: 1-line block ×3, first 2 shown]
	v_fma_f16 v1, v2, s18, v1
	v_fma_f16 v15, v18, s15, -v33
	v_fma_f16 v6, v6, s14, -v25
	v_fma_f16 v0, v2, s18, v0
	v_fma_f16 v2, v4, s15, -v23
	v_fma_f16 v21, v16, s18, v21
	v_add_f16_e32 v20, v20, v17
	v_add_f16_e32 v7, v7, v5
	;; [unrolled: 1-line block ×3, first 2 shown]
	v_fma_f16 v6, v16, s18, v6
	v_add_f16_e32 v2, v2, v5
	s_movk_i32 s2, 0x9a
	v_fma_f16 v28, v28, s19, v29
	v_add_f16_e32 v22, v22, v5
	v_sub_f16_e32 v3, v7, v1
	v_add_f16_e32 v4, v0, v2
	v_add_f16_e32 v5, v6, v15
	v_sub_f16_e32 v0, v2, v0
	v_sub_f16_e32 v2, v20, v21
	v_add_f16_e32 v1, v1, v7
	v_mad_legacy_u16 v13, v34, s2, v35
	v_fma_f16 v26, v16, s18, v26
	v_add_f16_e32 v28, v28, v17
	v_add_f16_e32 v24, v21, v20
	v_sub_f16_e32 v16, v15, v6
	v_lshlrev_b32_e32 v13, 2, v13
	v_pack_b32_f16 v1, v1, v2
	v_pack_b32_f16 v0, v0, v5
	v_add_f16_e32 v36, v26, v28
	v_sub_f16_e32 v37, v22, v14
	v_sub_f16_e32 v6, v28, v26
	v_add_f16_e32 v7, v14, v22
	ds_write2_b32 v13, v1, v0 offset0:44 offset1:66
	v_pack_b32_f16 v0, v4, v16
	v_pack_b32_f16 v1, v3, v24
	;; [unrolled: 1-line block ×4, first 2 shown]
	ds_write2_b32 v13, v0, v1 offset0:88 offset1:110
	v_pack_b32_f16 v0, v37, v36
	ds_write2_b32 v13, v14, v6 offset1:22
	ds_write_b32 v13, v0 offset:528
.LBB0_21:
	s_or_b64 exec, exec, s[4:5]
	v_add_u32_e32 v15, 0x400, v32
	s_waitcnt lgkmcnt(0)
	s_barrier
	ds_read2_b32 v[2:3], v15 offset0:52 offset1:206
	v_add_u32_e32 v16, 0x900, v32
	ds_read2_b32 v[4:5], v16 offset0:40 offset1:194
	v_add_u32_e32 v17, 0xe00, v32
	;; [unrolled: 2-line block ×3, first 2 shown]
	s_waitcnt lgkmcnt(2)
	v_lshrrev_b32_e32 v20, 16, v2
	ds_read2_b32 v[13:14], v18 offset0:80 offset1:234
	v_mul_f16_sdwa v29, v8, v20 dst_sel:DWORD dst_unused:UNUSED_PAD src0_sel:WORD_1 src1_sel:DWORD
	s_waitcnt lgkmcnt(2)
	v_lshrrev_b32_e32 v21, 16, v4
	v_fma_f16 v29, v8, v2, v29
	v_mul_f16_sdwa v2, v8, v2 dst_sel:DWORD dst_unused:UNUSED_PAD src0_sel:WORD_1 src1_sel:DWORD
	v_fma_f16 v2, v8, v20, -v2
	v_mul_f16_sdwa v20, v9, v21 dst_sel:DWORD dst_unused:UNUSED_PAD src0_sel:WORD_1 src1_sel:DWORD
	s_waitcnt lgkmcnt(1)
	v_lshrrev_b32_e32 v22, 16, v6
	v_fma_f16 v20, v9, v4, v20
	v_mul_f16_sdwa v4, v9, v4 dst_sel:DWORD dst_unused:UNUSED_PAD src0_sel:WORD_1 src1_sel:DWORD
	v_fma_f16 v4, v9, v21, -v4
	;; [unrolled: 6-line block ×3, first 2 shown]
	v_mul_f16_sdwa v22, v11, v23 dst_sel:DWORD dst_unused:UNUSED_PAD src0_sel:WORD_1 src1_sel:DWORD
	v_lshrrev_b32_e32 v25, 16, v3
	v_fma_f16 v22, v11, v13, v22
	v_mul_f16_sdwa v13, v11, v13 dst_sel:DWORD dst_unused:UNUSED_PAD src0_sel:WORD_1 src1_sel:DWORD
	v_fma_f16 v13, v11, v23, -v13
	v_mul_f16_sdwa v23, v8, v25 dst_sel:DWORD dst_unused:UNUSED_PAD src0_sel:WORD_1 src1_sel:DWORD
	v_lshrrev_b32_e32 v26, 16, v5
	v_fma_f16 v23, v8, v3, v23
	v_mul_f16_sdwa v3, v8, v3 dst_sel:DWORD dst_unused:UNUSED_PAD src0_sel:WORD_1 src1_sel:DWORD
	ds_read2_b32 v[0:1], v32 offset1:154
	v_fma_f16 v3, v8, v25, -v3
	v_mul_f16_sdwa v8, v9, v26 dst_sel:DWORD dst_unused:UNUSED_PAD src0_sel:WORD_1 src1_sel:DWORD
	v_lshrrev_b32_e32 v27, 16, v7
	v_fma_f16 v8, v9, v5, v8
	v_mul_f16_sdwa v5, v9, v5 dst_sel:DWORD dst_unused:UNUSED_PAD src0_sel:WORD_1 src1_sel:DWORD
	v_fma_f16 v5, v9, v26, -v5
	v_mul_f16_sdwa v9, v10, v27 dst_sel:DWORD dst_unused:UNUSED_PAD src0_sel:WORD_1 src1_sel:DWORD
	v_lshrrev_b32_e32 v28, 16, v14
	v_fma_f16 v9, v10, v7, v9
	v_mul_f16_sdwa v7, v10, v7 dst_sel:DWORD dst_unused:UNUSED_PAD src0_sel:WORD_1 src1_sel:DWORD
	v_fma_f16 v7, v10, v27, -v7
	v_mul_f16_sdwa v10, v11, v28 dst_sel:DWORD dst_unused:UNUSED_PAD src0_sel:WORD_1 src1_sel:DWORD
	v_add_f16_e32 v25, v20, v21
	v_fma_f16 v10, v11, v14, v10
	v_mul_f16_sdwa v14, v11, v14 dst_sel:DWORD dst_unused:UNUSED_PAD src0_sel:WORD_1 src1_sel:DWORD
	s_waitcnt lgkmcnt(0)
	v_fma_f16 v25, v25, -0.5, v0
	v_sub_f16_e32 v26, v2, v13
	s_mov_b32 s2, 0xbb9c
	s_movk_i32 s5, 0x3b9c
	v_fma_f16 v11, v11, v28, -v14
	v_fma_f16 v27, v26, s2, v25
	v_sub_f16_e32 v28, v4, v6
	s_mov_b32 s3, 0xb8b4
	v_sub_f16_e32 v33, v29, v20
	v_sub_f16_e32 v34, v22, v21
	v_fma_f16 v25, v26, s5, v25
	s_movk_i32 s14, 0x38b4
	v_fma_f16 v27, v28, s3, v27
	v_add_f16_e32 v33, v33, v34
	s_movk_i32 s4, 0x34f2
	v_fma_f16 v25, v28, s14, v25
	v_add_f16_e32 v14, v0, v29
	v_fma_f16 v27, v33, s4, v27
	v_fma_f16 v25, v33, s4, v25
	v_add_f16_e32 v33, v29, v22
	v_lshrrev_b32_e32 v19, 16, v0
	v_add_f16_e32 v14, v14, v20
	v_fma_f16 v0, v33, -0.5, v0
	v_add_f16_e32 v14, v14, v21
	v_fma_f16 v33, v28, s5, v0
	v_fma_f16 v0, v28, s2, v0
	v_add_f16_e32 v28, v4, v6
	v_add_f16_e32 v14, v14, v22
	v_sub_f16_e32 v34, v20, v29
	v_sub_f16_e32 v35, v21, v22
	v_fma_f16 v28, v28, -0.5, v19
	v_sub_f16_e32 v22, v29, v22
	v_fma_f16 v33, v26, s3, v33
	v_add_f16_e32 v34, v34, v35
	v_fma_f16 v0, v26, s14, v0
	v_fma_f16 v29, v22, s5, v28
	v_sub_f16_e32 v20, v20, v21
	v_fma_f16 v33, v34, s4, v33
	v_fma_f16 v0, v34, s4, v0
	;; [unrolled: 1-line block ×3, first 2 shown]
	v_sub_f16_e32 v29, v2, v4
	v_sub_f16_e32 v34, v13, v6
	v_fma_f16 v28, v22, s2, v28
	v_add_f16_e32 v26, v19, v2
	v_add_f16_e32 v29, v29, v34
	v_fma_f16 v28, v20, s3, v28
	v_add_f16_e32 v26, v26, v4
	v_fma_f16 v21, v29, s4, v21
	v_fma_f16 v28, v29, s4, v28
	v_add_f16_e32 v29, v2, v13
	v_add_f16_e32 v26, v26, v6
	v_fma_f16 v19, v29, -0.5, v19
	v_add_f16_e32 v26, v26, v13
	v_fma_f16 v29, v20, s2, v19
	v_sub_f16_e32 v2, v4, v2
	v_sub_f16_e32 v4, v6, v13
	v_add_f16_e32 v13, v8, v9
	v_fma_f16 v29, v22, s14, v29
	v_add_f16_e32 v2, v2, v4
	v_fma_f16 v6, v20, s5, v19
	v_fma_f16 v13, v13, -0.5, v1
	v_sub_f16_e32 v19, v3, v11
	v_fma_f16 v4, v2, s4, v29
	v_fma_f16 v6, v22, s3, v6
	v_fma_f16 v20, v19, s2, v13
	v_sub_f16_e32 v22, v5, v7
	v_sub_f16_e32 v29, v23, v8
	;; [unrolled: 1-line block ×3, first 2 shown]
	v_fma_f16 v13, v19, s5, v13
	v_fma_f16 v20, v22, s3, v20
	v_add_f16_e32 v29, v29, v34
	v_fma_f16 v13, v22, s14, v13
	v_fma_f16 v2, v2, s4, v6
	v_add_f16_e32 v6, v1, v23
	;; [unrolled: 3-line block ×3, first 2 shown]
	v_lshrrev_b32_e32 v24, 16, v1
	v_add_f16_e32 v6, v6, v8
	v_fma_f16 v1, v29, -0.5, v1
	v_add_f16_e32 v6, v6, v9
	v_fma_f16 v29, v22, s5, v1
	v_fma_f16 v1, v22, s2, v1
	v_add_f16_e32 v22, v5, v7
	v_add_f16_e32 v6, v6, v10
	v_sub_f16_e32 v34, v8, v23
	v_sub_f16_e32 v35, v9, v10
	v_fma_f16 v22, v22, -0.5, v24
	v_sub_f16_e32 v10, v23, v10
	v_fma_f16 v29, v19, s3, v29
	v_add_f16_e32 v34, v34, v35
	v_fma_f16 v1, v19, s14, v1
	v_fma_f16 v23, v10, s5, v22
	v_sub_f16_e32 v8, v8, v9
	v_fma_f16 v29, v34, s4, v29
	v_fma_f16 v1, v34, s4, v1
	;; [unrolled: 1-line block ×3, first 2 shown]
	v_sub_f16_e32 v23, v3, v5
	v_sub_f16_e32 v34, v11, v7
	v_fma_f16 v22, v10, s2, v22
	v_add_f16_e32 v23, v23, v34
	v_fma_f16 v22, v8, s3, v22
	v_add_f16_e32 v19, v24, v3
	v_fma_f16 v9, v23, s4, v9
	v_fma_f16 v22, v23, s4, v22
	v_add_f16_e32 v23, v3, v11
	v_add_f16_e32 v19, v19, v5
	v_fma_f16 v23, v23, -0.5, v24
	v_add_f16_e32 v19, v19, v7
	v_fma_f16 v24, v8, s2, v23
	v_sub_f16_e32 v3, v5, v3
	v_sub_f16_e32 v5, v7, v11
	v_add_f16_e32 v19, v19, v11
	v_fma_f16 v24, v10, s14, v24
	v_add_f16_e32 v3, v3, v5
	v_fma_f16 v7, v8, s5, v23
	v_pack_b32_f16 v4, v33, v4
	v_pack_b32_f16 v0, v0, v2
	v_fma_f16 v5, v3, s4, v24
	v_fma_f16 v7, v10, s3, v7
	s_barrier
	ds_write2_b32 v15, v4, v0 offset0:52 offset1:206
	v_pack_b32_f16 v0, v25, v28
	v_pack_b32_f16 v2, v6, v19
	v_fma_f16 v3, v3, s4, v7
	ds_write2_b32 v16, v0, v2 offset0:40 offset1:194
	v_pack_b32_f16 v0, v20, v9
	v_pack_b32_f16 v2, v29, v5
	;; [unrolled: 1-line block ×4, first 2 shown]
	ds_write2_b32 v17, v0, v2 offset0:28 offset1:182
	v_pack_b32_f16 v0, v1, v3
	v_pack_b32_f16 v1, v13, v22
	ds_write2_b32 v32, v7, v8 offset1:154
	ds_write2_b32 v18, v0, v1 offset0:80 offset1:234
	s_waitcnt lgkmcnt(0)
	s_barrier
	ds_read2_b32 v[0:1], v32 offset1:154
	ds_read2_b32 v[2:3], v16 offset0:40 offset1:194
	ds_read2_b32 v[4:5], v17 offset0:28 offset1:182
	;; [unrolled: 1-line block ×4, first 2 shown]
	s_waitcnt lgkmcnt(4)
	v_lshrrev_b32_e32 v10, 16, v0
	s_waitcnt lgkmcnt(3)
	v_lshrrev_b32_e32 v11, 16, v3
	v_mul_f16_sdwa v25, v51, v11 dst_sel:DWORD dst_unused:UNUSED_PAD src0_sel:WORD_1 src1_sel:DWORD
	s_waitcnt lgkmcnt(2)
	v_lshrrev_b32_e32 v14, 16, v4
	v_fma_f16 v25, v51, v3, v25
	v_mul_f16_sdwa v3, v51, v3 dst_sel:DWORD dst_unused:UNUSED_PAD src0_sel:WORD_1 src1_sel:DWORD
	v_fma_f16 v3, v51, v11, -v3
	v_mul_f16_sdwa v11, v52, v14 dst_sel:DWORD dst_unused:UNUSED_PAD src0_sel:WORD_1 src1_sel:DWORD
	v_lshrrev_b32_e32 v20, 16, v5
	v_fma_f16 v11, v52, v4, v11
	v_mul_f16_sdwa v4, v52, v4 dst_sel:DWORD dst_unused:UNUSED_PAD src0_sel:WORD_1 src1_sel:DWORD
	v_fma_f16 v4, v52, v14, -v4
	v_mul_f16_sdwa v14, v53, v20 dst_sel:DWORD dst_unused:UNUSED_PAD src0_sel:WORD_1 src1_sel:DWORD
	s_waitcnt lgkmcnt(0)
	v_lshrrev_b32_e32 v22, 16, v8
	v_fma_f16 v14, v53, v5, v14
	v_mul_f16_sdwa v5, v53, v5 dst_sel:DWORD dst_unused:UNUSED_PAD src0_sel:WORD_1 src1_sel:DWORD
	v_fma_f16 v5, v53, v20, -v5
	v_mul_f16_sdwa v20, v54, v22 dst_sel:DWORD dst_unused:UNUSED_PAD src0_sel:WORD_1 src1_sel:DWORD
	v_lshrrev_b32_e32 v24, 16, v9
	v_fma_f16 v20, v54, v8, v20
	v_mul_f16_sdwa v8, v54, v8 dst_sel:DWORD dst_unused:UNUSED_PAD src0_sel:WORD_1 src1_sel:DWORD
	v_fma_f16 v8, v54, v22, -v8
	v_mul_f16_sdwa v22, v55, v24 dst_sel:DWORD dst_unused:UNUSED_PAD src0_sel:WORD_1 src1_sel:DWORD
	v_lshrrev_b32_e32 v13, 16, v1
	v_fma_f16 v22, v55, v9, v22
	v_mul_f16_sdwa v9, v55, v9 dst_sel:DWORD dst_unused:UNUSED_PAD src0_sel:WORD_1 src1_sel:DWORD
	v_fma_f16 v9, v55, v24, -v9
	v_sub_f16_e32 v24, v0, v25
	v_sub_f16_e32 v3, v10, v3
	;; [unrolled: 1-line block ×4, first 2 shown]
	v_lshrrev_b32_e32 v19, 16, v6
	v_lshrrev_b32_e32 v21, 16, v7
	v_fma_f16 v0, v0, 2.0, -v24
	v_fma_f16 v10, v10, 2.0, -v3
	;; [unrolled: 1-line block ×4, first 2 shown]
	v_lshrrev_b32_e32 v23, 16, v2
	v_sub_f16_e32 v14, v6, v14
	v_sub_f16_e32 v5, v19, v5
	;; [unrolled: 1-line block ×4, first 2 shown]
	v_pack_b32_f16 v0, v0, v10
	v_pack_b32_f16 v1, v1, v13
	v_fma_f16 v6, v6, 2.0, -v14
	v_fma_f16 v19, v19, 2.0, -v5
	;; [unrolled: 1-line block ×4, first 2 shown]
	v_sub_f16_e32 v22, v2, v22
	v_sub_f16_e32 v9, v23, v9
	ds_write2_b32 v32, v0, v1 offset1:154
	v_pack_b32_f16 v0, v11, v4
	v_pack_b32_f16 v4, v14, v5
	v_fma_f16 v2, v2, 2.0, -v22
	v_fma_f16 v23, v23, 2.0, -v9
	v_pack_b32_f16 v1, v6, v19
	ds_write2_b32 v17, v0, v4 offset0:28 offset1:182
	v_pack_b32_f16 v0, v7, v21
	v_pack_b32_f16 v3, v24, v3
	ds_write2_b32 v15, v1, v0 offset0:52 offset1:206
	v_pack_b32_f16 v1, v2, v23
	;; [unrolled: 3-line block ×3, first 2 shown]
	ds_write2_b32 v18, v0, v1 offset0:80 offset1:234
	s_waitcnt lgkmcnt(0)
	s_barrier
	s_and_b64 exec, exec, s[0:1]
	s_cbranch_execz .LBB0_23
; %bb.22:
	global_load_dword v5, v30, s[6:7]
	ds_read_b32 v6, v32
	global_load_dword v3, v30, s[6:7] offset:560
	global_load_dword v4, v30, s[6:7] offset:1120
	;; [unrolled: 1-line block ×4, first 2 shown]
	v_mad_u64_u32 v[0:1], s[0:1], s10, v12, 0
	v_mov_b32_e32 v9, s7
	v_add_co_u32_e32 v10, vcc, s6, v30
	s_movk_i32 s0, 0x1000
	v_addc_co_u32_e32 v9, vcc, 0, v9, vcc
	v_add_co_u32_e32 v13, vcc, s0, v10
	v_addc_co_u32_e32 v14, vcc, 0, v9, vcc
	global_load_dword v10, v[13:14], off offset:384
	global_load_dword v11, v[13:14], off offset:944
	;; [unrolled: 1-line block ×3, first 2 shown]
	s_waitcnt lgkmcnt(0)
	v_lshrrev_b32_e32 v13, 16, v6
	s_mov_b32 s14, 0xe6bb82fe
	s_mov_b32 s15, 0x3f454725
	v_mov_b32_e32 v2, 0x7c00
	v_mad_u64_u32 v[17:18], s[0:1], s11, v12, v[1:2]
	s_movk_i32 s10, 0x1ff
	v_add_u32_e32 v1, 0x200, v30
	s_movk_i32 s16, 0xffe
	ds_read2_b32 v[18:19], v1 offset0:12 offset1:152
	v_mov_b32_e32 v1, v17
	s_movk_i32 s17, 0x40f
	s_mov_b32 s18, 0x8000
	v_lshlrev_b64 v[0:1], 2, v[0:1]
	s_waitcnt vmcnt(7)
	v_mul_f16_sdwa v14, v13, v5 dst_sel:DWORD dst_unused:UNUSED_PAD src0_sel:DWORD src1_sel:WORD_1
	v_fma_f16 v14, v6, v5, v14
	v_mul_f16_sdwa v6, v6, v5 dst_sel:DWORD dst_unused:UNUSED_PAD src0_sel:DWORD src1_sel:WORD_1
	v_cvt_f32_f16_e32 v14, v14
	v_fma_f16 v5, v5, v13, -v6
	v_cvt_f32_f16_e32 v15, v5
	v_cvt_f64_f32_e32 v[5:6], v14
	v_mad_u64_u32 v[13:14], s[0:1], s8, v31, 0
	v_cvt_f64_f32_e32 v[15:16], v15
	v_mul_f64 v[5:6], v[5:6], s[14:15]
	v_mul_f64 v[15:16], v[15:16], s[14:15]
	v_and_or_b32 v5, v6, s10, v5
	v_cmp_ne_u32_e32 vcc, 0, v5
	v_lshrrev_b32_e32 v12, 8, v6
	v_and_or_b32 v15, v16, s10, v15
	v_bfe_u32 v17, v6, 20, 11
	v_cndmask_b32_e64 v5, 0, 1, vcc
	v_cmp_ne_u32_e32 vcc, 0, v15
	v_lshrrev_b32_e32 v20, 8, v16
	v_bfe_u32 v21, v16, 20, 11
	v_sub_u32_e32 v22, 0x3f1, v17
	v_cndmask_b32_e64 v15, 0, 1, vcc
	v_and_or_b32 v5, v12, s16, v5
	v_sub_u32_e32 v23, 0x3f1, v21
	v_med3_i32 v12, v22, 0, 13
	v_and_or_b32 v15, v20, s16, v15
	v_or_b32_e32 v22, 0x1000, v5
	v_add_u32_e32 v17, 0xfffffc10, v17
	v_med3_i32 v20, v23, 0, 13
	v_cmp_ne_u32_e32 vcc, 0, v5
	v_or_b32_e32 v24, 0x1000, v15
	v_lshrrev_b32_e32 v26, v12, v22
	v_add_u32_e32 v21, 0xfffffc10, v21
	v_lshl_or_b32 v23, v17, 12, v5
	v_cndmask_b32_e64 v5, 0, 1, vcc
	v_cmp_ne_u32_e32 vcc, 0, v15
	v_lshrrev_b32_e32 v27, v20, v24
	v_lshlrev_b32_e32 v12, v12, v26
	v_lshl_or_b32 v25, v21, 12, v15
	v_cndmask_b32_e64 v15, 0, 1, vcc
	v_lshlrev_b32_e32 v20, v20, v27
	v_cmp_ne_u32_e32 vcc, v12, v22
	v_cndmask_b32_e64 v12, 0, 1, vcc
	v_cmp_ne_u32_e32 vcc, v20, v24
	v_cndmask_b32_e64 v20, 0, 1, vcc
	v_or_b32_e32 v12, v26, v12
	v_cmp_gt_i32_e32 vcc, 1, v17
	v_cndmask_b32_e32 v12, v23, v12, vcc
	v_or_b32_e32 v20, v27, v20
	v_cmp_gt_i32_e32 vcc, 1, v21
	v_and_b32_e32 v22, 7, v12
	v_cndmask_b32_e32 v20, v25, v20, vcc
	v_cmp_lt_i32_e32 vcc, 5, v22
	v_cmp_eq_u32_e64 s[0:1], 3, v22
	v_lshrrev_b32_e32 v12, 2, v12
	v_and_b32_e32 v23, 7, v20
	s_or_b64 vcc, s[0:1], vcc
	v_cmp_lt_i32_e64 s[2:3], 5, v23
	v_cmp_eq_u32_e64 s[4:5], 3, v23
	v_addc_co_u32_e32 v12, vcc, 0, v12, vcc
	v_lshrrev_b32_e32 v20, 2, v20
	s_or_b64 vcc, s[4:5], s[2:3]
	v_addc_co_u32_e32 v20, vcc, 0, v20, vcc
	v_cmp_gt_i32_e32 vcc, 31, v17
	v_cndmask_b32_e32 v12, v2, v12, vcc
	v_cmp_gt_i32_e32 vcc, 31, v21
	v_lshl_or_b32 v5, v5, 9, v2
	v_cndmask_b32_e32 v20, v2, v20, vcc
	v_cmp_eq_u32_e32 vcc, s17, v17
	v_lshrrev_b32_e32 v6, 16, v6
	v_lshl_or_b32 v15, v15, 9, v2
	v_cndmask_b32_e32 v5, v12, v5, vcc
	v_cmp_eq_u32_e32 vcc, s17, v21
	v_cndmask_b32_e32 v12, v20, v15, vcc
	v_and_or_b32 v15, v6, s18, v5
	v_mov_b32_e32 v5, v14
	v_mad_u64_u32 v[5:6], s[0:1], s9, v31, v[5:6]
	s_waitcnt lgkmcnt(0)
	v_lshrrev_b32_e32 v17, 16, v18
	s_waitcnt vmcnt(6)
	v_mul_f16_sdwa v6, v17, v3 dst_sel:DWORD dst_unused:UNUSED_PAD src0_sel:DWORD src1_sel:WORD_1
	v_fma_f16 v6, v18, v3, v6
	v_cvt_f32_f16_e32 v6, v6
	v_mov_b32_e32 v14, v5
	v_lshrrev_b32_e32 v16, 16, v16
	v_and_or_b32 v12, v16, s18, v12
	v_cvt_f64_f32_e32 v[5:6], v6
	v_and_b32_e32 v15, 0xffff, v15
	v_lshl_or_b32 v12, v12, 16, v15
	v_mov_b32_e32 v15, s13
	v_mul_f64 v[5:6], v[5:6], s[14:15]
	v_add_co_u32_e32 v16, vcc, s12, v0
	v_addc_co_u32_e32 v15, vcc, v15, v1, vcc
	v_lshlrev_b64 v[0:1], 2, v[13:14]
	s_mul_hi_u32 s2, s8, 0x230
	v_add_co_u32_e32 v0, vcc, v16, v0
	v_addc_co_u32_e32 v1, vcc, v15, v1, vcc
	v_and_or_b32 v5, v6, s10, v5
	v_cmp_ne_u32_e32 vcc, 0, v5
	global_store_dword v[0:1], v12, off
	v_cndmask_b32_e64 v5, 0, 1, vcc
	v_lshrrev_b32_e32 v12, 8, v6
	v_bfe_u32 v13, v6, 20, 11
	v_and_or_b32 v5, v12, s16, v5
	v_sub_u32_e32 v14, 0x3f1, v13
	v_or_b32_e32 v12, 0x1000, v5
	v_med3_i32 v14, v14, 0, 13
	v_lshrrev_b32_e32 v15, v14, v12
	v_lshlrev_b32_e32 v14, v14, v15
	v_cmp_ne_u32_e32 vcc, v14, v12
	v_cndmask_b32_e64 v12, 0, 1, vcc
	v_or_b32_e32 v12, v15, v12
	v_mul_f16_sdwa v15, v18, v3 dst_sel:DWORD dst_unused:UNUSED_PAD src0_sel:DWORD src1_sel:WORD_1
	v_fma_f16 v3, v3, v17, -v15
	v_add_u32_e32 v14, 0xfffffc10, v13
	v_cvt_f32_f16_e32 v3, v3
	v_lshl_or_b32 v13, v14, 12, v5
	v_cmp_gt_i32_e32 vcc, 1, v14
	v_cndmask_b32_e32 v12, v13, v12, vcc
	v_and_b32_e32 v13, 7, v12
	v_cmp_lt_i32_e32 vcc, 5, v13
	v_cmp_eq_u32_e64 s[0:1], 3, v13
	v_lshrrev_b32_e32 v15, 2, v12
	v_cvt_f64_f32_e32 v[12:13], v3
	s_or_b64 vcc, s[0:1], vcc
	v_addc_co_u32_e32 v3, vcc, 0, v15, vcc
	v_mul_f64 v[12:13], v[12:13], s[14:15]
	v_cmp_gt_i32_e32 vcc, 31, v14
	v_cndmask_b32_e32 v3, v2, v3, vcc
	v_cmp_ne_u32_e32 vcc, 0, v5
	v_cndmask_b32_e64 v5, 0, 1, vcc
	v_lshl_or_b32 v5, v5, 9, v2
	v_cmp_eq_u32_e32 vcc, s17, v14
	v_cndmask_b32_e32 v3, v3, v5, vcc
	v_lshrrev_b32_e32 v5, 16, v6
	v_and_or_b32 v3, v5, s18, v3
	v_and_or_b32 v5, v13, s10, v12
	v_cmp_ne_u32_e32 vcc, 0, v5
	v_cndmask_b32_e64 v5, 0, 1, vcc
	v_lshrrev_b32_e32 v6, 8, v13
	v_bfe_u32 v12, v13, 20, 11
	v_and_or_b32 v5, v6, s16, v5
	v_sub_u32_e32 v14, 0x3f1, v12
	v_or_b32_e32 v6, 0x1000, v5
	v_med3_i32 v14, v14, 0, 13
	v_lshrrev_b32_e32 v15, v14, v6
	v_lshlrev_b32_e32 v14, v14, v15
	v_cmp_ne_u32_e32 vcc, v14, v6
	v_cndmask_b32_e64 v6, 0, 1, vcc
	v_add_u32_e32 v12, 0xfffffc10, v12
	v_or_b32_e32 v6, v15, v6
	v_lshl_or_b32 v14, v12, 12, v5
	v_cmp_gt_i32_e32 vcc, 1, v12
	v_cndmask_b32_e32 v6, v14, v6, vcc
	v_and_b32_e32 v14, 7, v6
	v_cmp_lt_i32_e32 vcc, 5, v14
	v_cmp_eq_u32_e64 s[0:1], 3, v14
	v_lshrrev_b32_e32 v6, 2, v6
	s_or_b64 vcc, s[0:1], vcc
	v_addc_co_u32_e32 v6, vcc, 0, v6, vcc
	v_cmp_gt_i32_e32 vcc, 31, v12
	v_cndmask_b32_e32 v6, v2, v6, vcc
	v_cmp_ne_u32_e32 vcc, 0, v5
	v_cndmask_b32_e64 v5, 0, 1, vcc
	v_lshl_or_b32 v5, v5, 9, v2
	v_cmp_eq_u32_e32 vcc, s17, v12
	v_lshrrev_b32_e32 v12, 16, v19
	v_cndmask_b32_e32 v5, v6, v5, vcc
	v_lshrrev_b32_e32 v6, 16, v13
	s_waitcnt vmcnt(6)
	v_mul_f16_sdwa v13, v12, v4 dst_sel:DWORD dst_unused:UNUSED_PAD src0_sel:DWORD src1_sel:WORD_1
	v_fma_f16 v13, v19, v4, v13
	v_cvt_f32_f16_e32 v13, v13
	v_and_or_b32 v5, v6, s18, v5
	v_and_b32_e32 v3, 0xffff, v3
	v_lshl_or_b32 v3, v5, 16, v3
	v_cvt_f64_f32_e32 v[5:6], v13
	s_mul_i32 s0, s9, 0x230
	s_add_i32 s2, s2, s0
	s_mul_i32 s3, s8, 0x230
	v_mul_f64 v[5:6], v[5:6], s[14:15]
	v_mov_b32_e32 v13, s2
	v_add_co_u32_e32 v0, vcc, s3, v0
	v_addc_co_u32_e32 v1, vcc, v1, v13, vcc
	global_store_dword v[0:1], v3, off
	v_and_or_b32 v3, v6, s10, v5
	v_cmp_ne_u32_e32 vcc, 0, v3
	v_cndmask_b32_e64 v3, 0, 1, vcc
	v_lshrrev_b32_e32 v5, 8, v6
	v_bfe_u32 v13, v6, 20, 11
	v_and_or_b32 v5, v5, s16, v3
	v_sub_u32_e32 v14, 0x3f1, v13
	v_or_b32_e32 v3, 0x1000, v5
	v_med3_i32 v14, v14, 0, 13
	v_lshrrev_b32_e32 v15, v14, v3
	v_lshlrev_b32_e32 v14, v14, v15
	v_cmp_ne_u32_e32 vcc, v14, v3
	v_cndmask_b32_e64 v3, 0, 1, vcc
	v_or_b32_e32 v3, v15, v3
	v_mul_f16_sdwa v15, v19, v4 dst_sel:DWORD dst_unused:UNUSED_PAD src0_sel:DWORD src1_sel:WORD_1
	v_fma_f16 v4, v4, v12, -v15
	v_cvt_f32_f16_e32 v4, v4
	v_add_u32_e32 v13, 0xfffffc10, v13
	v_lshl_or_b32 v14, v13, 12, v5
	v_cmp_gt_i32_e32 vcc, 1, v13
	v_cndmask_b32_e32 v3, v14, v3, vcc
	v_and_b32_e32 v14, 7, v3
	v_lshrrev_b32_e32 v12, 2, v3
	v_cvt_f64_f32_e32 v[3:4], v4
	v_cmp_lt_i32_e32 vcc, 5, v14
	v_cmp_eq_u32_e64 s[0:1], 3, v14
	s_or_b64 vcc, s[0:1], vcc
	v_mul_f64 v[3:4], v[3:4], s[14:15]
	v_addc_co_u32_e32 v12, vcc, 0, v12, vcc
	v_cmp_gt_i32_e32 vcc, 31, v13
	v_cndmask_b32_e32 v12, v2, v12, vcc
	v_cmp_ne_u32_e32 vcc, 0, v5
	v_cndmask_b32_e64 v5, 0, 1, vcc
	v_lshl_or_b32 v5, v5, 9, v2
	v_cmp_eq_u32_e32 vcc, s17, v13
	v_and_or_b32 v3, v4, s10, v3
	v_cndmask_b32_e32 v5, v12, v5, vcc
	v_lshrrev_b32_e32 v6, 16, v6
	v_cmp_ne_u32_e32 vcc, 0, v3
	v_and_or_b32 v14, v6, s18, v5
	v_cndmask_b32_e64 v3, 0, 1, vcc
	v_lshrrev_b32_e32 v5, 8, v4
	v_bfe_u32 v6, v4, 20, 11
	v_and_or_b32 v3, v5, s16, v3
	v_sub_u32_e32 v12, 0x3f1, v6
	v_or_b32_e32 v5, 0x1000, v3
	v_med3_i32 v12, v12, 0, 13
	v_lshrrev_b32_e32 v13, v12, v5
	v_lshlrev_b32_e32 v12, v12, v13
	v_cmp_ne_u32_e32 vcc, v12, v5
	v_cndmask_b32_e64 v5, 0, 1, vcc
	v_add_u32_e32 v12, 0xfffffc10, v6
	v_or_b32_e32 v5, v13, v5
	v_lshl_or_b32 v6, v12, 12, v3
	v_cmp_gt_i32_e32 vcc, 1, v12
	v_cndmask_b32_e32 v5, v6, v5, vcc
	v_and_b32_e32 v6, 7, v5
	v_cmp_lt_i32_e32 vcc, 5, v6
	v_cmp_eq_u32_e64 s[0:1], 3, v6
	v_lshrrev_b32_e32 v5, 2, v5
	s_or_b64 vcc, s[0:1], vcc
	v_addc_co_u32_e32 v13, vcc, 0, v5, vcc
	v_add_u32_e32 v5, 0x600, v30
	ds_read2_b32 v[5:6], v5 offset0:36 offset1:176
	v_cmp_gt_i32_e32 vcc, 31, v12
	v_cndmask_b32_e32 v13, v2, v13, vcc
	v_cmp_ne_u32_e32 vcc, 0, v3
	v_cndmask_b32_e64 v3, 0, 1, vcc
	s_waitcnt lgkmcnt(0)
	v_lshrrev_b32_e32 v15, 16, v5
	s_waitcnt vmcnt(6)
	v_mul_f16_sdwa v16, v15, v7 dst_sel:DWORD dst_unused:UNUSED_PAD src0_sel:DWORD src1_sel:WORD_1
	v_fma_f16 v16, v5, v7, v16
	v_cvt_f32_f16_e32 v16, v16
	v_lshl_or_b32 v3, v3, 9, v2
	v_cmp_eq_u32_e32 vcc, s17, v12
	v_cndmask_b32_e32 v3, v13, v3, vcc
	v_cvt_f64_f32_e32 v[12:13], v16
	v_lshrrev_b32_e32 v4, 16, v4
	v_and_or_b32 v16, v4, s18, v3
	v_add_co_u32_e32 v0, vcc, s3, v0
	v_mul_f64 v[3:4], v[12:13], s[14:15]
	v_mov_b32_e32 v13, s2
	v_and_b32_e32 v14, 0xffff, v14
	v_addc_co_u32_e32 v1, vcc, v1, v13, vcc
	v_lshl_or_b32 v12, v16, 16, v14
	global_store_dword v[0:1], v12, off
	v_mul_f16_sdwa v5, v5, v7 dst_sel:DWORD dst_unused:UNUSED_PAD src0_sel:DWORD src1_sel:WORD_1
	v_and_or_b32 v3, v4, s10, v3
	v_cmp_ne_u32_e32 vcc, 0, v3
	v_cndmask_b32_e64 v3, 0, 1, vcc
	v_lshrrev_b32_e32 v12, 8, v4
	v_bfe_u32 v13, v4, 20, 11
	v_and_or_b32 v3, v12, s16, v3
	v_sub_u32_e32 v14, 0x3f1, v13
	v_or_b32_e32 v12, 0x1000, v3
	v_med3_i32 v14, v14, 0, 13
	v_lshrrev_b32_e32 v16, v14, v12
	v_lshlrev_b32_e32 v14, v14, v16
	v_cmp_ne_u32_e32 vcc, v14, v12
	v_fma_f16 v5, v7, v15, -v5
	v_cndmask_b32_e64 v12, 0, 1, vcc
	v_add_u32_e32 v14, 0xfffffc10, v13
	v_cvt_f32_f16_e32 v5, v5
	v_or_b32_e32 v12, v16, v12
	v_lshl_or_b32 v13, v14, 12, v3
	v_cmp_gt_i32_e32 vcc, 1, v14
	v_cndmask_b32_e32 v12, v13, v12, vcc
	v_and_b32_e32 v13, 7, v12
	v_cmp_lt_i32_e32 vcc, 5, v13
	v_cmp_eq_u32_e64 s[0:1], 3, v13
	v_lshrrev_b32_e32 v7, 2, v12
	v_cvt_f64_f32_e32 v[12:13], v5
	s_or_b64 vcc, s[0:1], vcc
	v_addc_co_u32_e32 v5, vcc, 0, v7, vcc
	v_mul_f64 v[12:13], v[12:13], s[14:15]
	v_cmp_gt_i32_e32 vcc, 31, v14
	v_cndmask_b32_e32 v5, v2, v5, vcc
	v_cmp_ne_u32_e32 vcc, 0, v3
	v_cndmask_b32_e64 v3, 0, 1, vcc
	v_lshl_or_b32 v3, v3, 9, v2
	v_cmp_eq_u32_e32 vcc, s17, v14
	v_cndmask_b32_e32 v3, v5, v3, vcc
	v_lshrrev_b32_e32 v4, 16, v4
	v_and_or_b32 v5, v4, s18, v3
	v_and_or_b32 v3, v13, s10, v12
	v_cmp_ne_u32_e32 vcc, 0, v3
	v_cndmask_b32_e64 v3, 0, 1, vcc
	v_lshrrev_b32_e32 v4, 8, v13
	v_bfe_u32 v7, v13, 20, 11
	v_and_or_b32 v3, v4, s16, v3
	v_sub_u32_e32 v12, 0x3f1, v7
	v_or_b32_e32 v4, 0x1000, v3
	v_med3_i32 v12, v12, 0, 13
	v_lshrrev_b32_e32 v14, v12, v4
	v_lshlrev_b32_e32 v12, v12, v14
	v_cmp_ne_u32_e32 vcc, v12, v4
	v_cndmask_b32_e64 v4, 0, 1, vcc
	v_add_u32_e32 v7, 0xfffffc10, v7
	v_or_b32_e32 v4, v14, v4
	v_lshl_or_b32 v12, v7, 12, v3
	v_cmp_gt_i32_e32 vcc, 1, v7
	v_cndmask_b32_e32 v4, v12, v4, vcc
	v_and_b32_e32 v12, 7, v4
	v_cmp_lt_i32_e32 vcc, 5, v12
	v_cmp_eq_u32_e64 s[0:1], 3, v12
	v_lshrrev_b32_e32 v4, 2, v4
	s_or_b64 vcc, s[0:1], vcc
	v_addc_co_u32_e32 v4, vcc, 0, v4, vcc
	v_cmp_gt_i32_e32 vcc, 31, v7
	v_cndmask_b32_e32 v4, v2, v4, vcc
	v_cmp_ne_u32_e32 vcc, 0, v3
	v_cndmask_b32_e64 v3, 0, 1, vcc
	v_lshl_or_b32 v3, v3, 9, v2
	v_lshrrev_b32_e32 v12, 16, v6
	v_cmp_eq_u32_e32 vcc, s17, v7
	s_waitcnt vmcnt(6)
	v_mul_f16_sdwa v14, v12, v8 dst_sel:DWORD dst_unused:UNUSED_PAD src0_sel:DWORD src1_sel:WORD_1
	v_cndmask_b32_e32 v7, v4, v3, vcc
	v_lshrrev_b32_e32 v13, 16, v13
	v_fma_f16 v14, v6, v8, v14
	v_and_or_b32 v7, v13, s18, v7
	global_load_dword v13, v30, s[6:7] offset:2800
	v_cvt_f32_f16_e32 v14, v14
	v_and_b32_e32 v5, 0xffff, v5
	v_lshl_or_b32 v5, v7, 16, v5
	v_mov_b32_e32 v7, s2
	v_cvt_f64_f32_e32 v[3:4], v14
	v_add_co_u32_e32 v0, vcc, s3, v0
	v_addc_co_u32_e32 v1, vcc, v1, v7, vcc
	v_mul_f64 v[3:4], v[3:4], s[14:15]
	global_store_dword v[0:1], v5, off
	v_mul_f16_sdwa v6, v6, v8 dst_sel:DWORD dst_unused:UNUSED_PAD src0_sel:DWORD src1_sel:WORD_1
	v_fma_f16 v6, v8, v12, -v6
	v_cvt_f32_f16_e32 v6, v6
	v_and_or_b32 v3, v4, s10, v3
	v_cmp_ne_u32_e32 vcc, 0, v3
	v_cndmask_b32_e64 v3, 0, 1, vcc
	v_lshrrev_b32_e32 v5, 8, v4
	v_bfe_u32 v7, v4, 20, 11
	v_and_or_b32 v3, v5, s16, v3
	v_sub_u32_e32 v14, 0x3f1, v7
	v_or_b32_e32 v5, 0x1000, v3
	v_med3_i32 v14, v14, 0, 13
	v_lshrrev_b32_e32 v15, v14, v5
	v_lshlrev_b32_e32 v14, v14, v15
	v_cmp_ne_u32_e32 vcc, v14, v5
	v_cndmask_b32_e64 v5, 0, 1, vcc
	v_add_u32_e32 v7, 0xfffffc10, v7
	v_or_b32_e32 v5, v15, v5
	v_lshl_or_b32 v14, v7, 12, v3
	v_cmp_gt_i32_e32 vcc, 1, v7
	v_cndmask_b32_e32 v5, v14, v5, vcc
	v_and_b32_e32 v14, 7, v5
	v_lshrrev_b32_e32 v8, 2, v5
	v_cvt_f64_f32_e32 v[5:6], v6
	v_cmp_lt_i32_e32 vcc, 5, v14
	v_cmp_eq_u32_e64 s[0:1], 3, v14
	s_or_b64 vcc, s[0:1], vcc
	v_mul_f64 v[5:6], v[5:6], s[14:15]
	v_addc_co_u32_e32 v8, vcc, 0, v8, vcc
	v_cmp_gt_i32_e32 vcc, 31, v7
	v_cndmask_b32_e32 v8, v2, v8, vcc
	v_cmp_ne_u32_e32 vcc, 0, v3
	v_cndmask_b32_e64 v3, 0, 1, vcc
	v_lshl_or_b32 v3, v3, 9, v2
	v_cmp_eq_u32_e32 vcc, s17, v7
	v_cndmask_b32_e32 v3, v8, v3, vcc
	v_lshrrev_b32_e32 v4, 16, v4
	v_and_or_b32 v12, v4, s18, v3
	v_and_or_b32 v3, v6, s10, v5
	v_cmp_ne_u32_e32 vcc, 0, v3
	v_cndmask_b32_e64 v3, 0, 1, vcc
	v_lshrrev_b32_e32 v4, 8, v6
	v_and_or_b32 v5, v4, s16, v3
	v_bfe_u32 v4, v6, 20, 11
	v_sub_u32_e32 v7, 0x3f1, v4
	v_or_b32_e32 v3, 0x1000, v5
	v_med3_i32 v7, v7, 0, 13
	v_lshrrev_b32_e32 v8, v7, v3
	v_lshlrev_b32_e32 v7, v7, v8
	v_cmp_ne_u32_e32 vcc, v7, v3
	v_cndmask_b32_e64 v3, 0, 1, vcc
	v_add_u32_e32 v7, 0xfffffc10, v4
	v_or_b32_e32 v3, v8, v3
	v_lshl_or_b32 v4, v7, 12, v5
	v_cmp_gt_i32_e32 vcc, 1, v7
	v_cndmask_b32_e32 v3, v4, v3, vcc
	v_and_b32_e32 v4, 7, v3
	v_cmp_lt_i32_e32 vcc, 5, v4
	v_cmp_eq_u32_e64 s[0:1], 3, v4
	v_lshrrev_b32_e32 v3, 2, v3
	s_or_b64 vcc, s[0:1], vcc
	v_addc_co_u32_e32 v8, vcc, 0, v3, vcc
	v_add_u32_e32 v3, 0xa00, v30
	ds_read2_b32 v[3:4], v3 offset0:60 offset1:200
	global_load_dword v15, v30, s[6:7] offset:3360
	global_load_dword v16, v30, s[6:7] offset:3920
	v_cmp_gt_i32_e32 vcc, 31, v7
	v_cndmask_b32_e32 v8, v2, v8, vcc
	v_cmp_ne_u32_e32 vcc, 0, v5
	s_waitcnt lgkmcnt(0)
	v_lshrrev_b32_e32 v14, 16, v3
	s_waitcnt vmcnt(3)
	v_mul_f16_sdwa v17, v14, v13 dst_sel:DWORD dst_unused:UNUSED_PAD src0_sel:DWORD src1_sel:WORD_1
	v_fma_f16 v17, v3, v13, v17
	v_cvt_f32_f16_e32 v17, v17
	v_cndmask_b32_e64 v5, 0, 1, vcc
	v_lshl_or_b32 v5, v5, 9, v2
	v_cmp_eq_u32_e32 vcc, s17, v7
	v_cndmask_b32_e32 v5, v8, v5, vcc
	v_cvt_f64_f32_e32 v[7:8], v17
	v_lshrrev_b32_e32 v6, 16, v6
	v_and_or_b32 v17, v6, s18, v5
	v_add_co_u32_e32 v0, vcc, s3, v0
	v_mul_f64 v[5:6], v[7:8], s[14:15]
	v_mov_b32_e32 v8, s2
	v_and_b32_e32 v12, 0xffff, v12
	v_addc_co_u32_e32 v1, vcc, v1, v8, vcc
	v_lshl_or_b32 v7, v17, 16, v12
	global_store_dword v[0:1], v7, off
	v_mul_f16_sdwa v3, v3, v13 dst_sel:DWORD dst_unused:UNUSED_PAD src0_sel:DWORD src1_sel:WORD_1
	v_and_or_b32 v5, v6, s10, v5
	v_cmp_ne_u32_e32 vcc, 0, v5
	v_cndmask_b32_e64 v5, 0, 1, vcc
	v_lshrrev_b32_e32 v7, 8, v6
	v_bfe_u32 v8, v6, 20, 11
	v_and_or_b32 v5, v7, s16, v5
	v_sub_u32_e32 v12, 0x3f1, v8
	v_or_b32_e32 v7, 0x1000, v5
	v_med3_i32 v12, v12, 0, 13
	v_lshrrev_b32_e32 v17, v12, v7
	v_lshlrev_b32_e32 v12, v12, v17
	v_cmp_ne_u32_e32 vcc, v12, v7
	v_fma_f16 v3, v13, v14, -v3
	v_cndmask_b32_e64 v7, 0, 1, vcc
	v_add_u32_e32 v12, 0xfffffc10, v8
	v_cvt_f32_f16_e32 v3, v3
	v_or_b32_e32 v7, v17, v7
	v_lshl_or_b32 v8, v12, 12, v5
	v_cmp_gt_i32_e32 vcc, 1, v12
	v_cndmask_b32_e32 v7, v8, v7, vcc
	v_and_b32_e32 v8, 7, v7
	v_cmp_lt_i32_e32 vcc, 5, v8
	v_cmp_eq_u32_e64 s[0:1], 3, v8
	v_lshrrev_b32_e32 v13, 2, v7
	v_cvt_f64_f32_e32 v[7:8], v3
	s_or_b64 vcc, s[0:1], vcc
	v_addc_co_u32_e32 v3, vcc, 0, v13, vcc
	v_mul_f64 v[7:8], v[7:8], s[14:15]
	v_cmp_gt_i32_e32 vcc, 31, v12
	v_cndmask_b32_e32 v3, v2, v3, vcc
	v_cmp_ne_u32_e32 vcc, 0, v5
	v_cndmask_b32_e64 v5, 0, 1, vcc
	v_lshl_or_b32 v5, v5, 9, v2
	v_cmp_eq_u32_e32 vcc, s17, v12
	v_cndmask_b32_e32 v3, v3, v5, vcc
	v_lshrrev_b32_e32 v5, 16, v6
	v_and_or_b32 v3, v5, s18, v3
	v_and_or_b32 v5, v8, s10, v7
	v_cmp_ne_u32_e32 vcc, 0, v5
	v_cndmask_b32_e64 v5, 0, 1, vcc
	v_lshrrev_b32_e32 v6, 8, v8
	v_bfe_u32 v7, v8, 20, 11
	v_and_or_b32 v5, v6, s16, v5
	v_sub_u32_e32 v12, 0x3f1, v7
	v_or_b32_e32 v6, 0x1000, v5
	v_med3_i32 v12, v12, 0, 13
	v_lshrrev_b32_e32 v13, v12, v6
	v_lshlrev_b32_e32 v12, v12, v13
	v_cmp_ne_u32_e32 vcc, v12, v6
	v_cndmask_b32_e64 v6, 0, 1, vcc
	v_add_u32_e32 v7, 0xfffffc10, v7
	v_or_b32_e32 v6, v13, v6
	v_lshl_or_b32 v12, v7, 12, v5
	v_cmp_gt_i32_e32 vcc, 1, v7
	v_cndmask_b32_e32 v6, v12, v6, vcc
	v_and_b32_e32 v12, 7, v6
	v_cmp_lt_i32_e32 vcc, 5, v12
	v_cmp_eq_u32_e64 s[0:1], 3, v12
	v_lshrrev_b32_e32 v12, 16, v4
	v_lshrrev_b32_e32 v6, 2, v6
	s_or_b64 vcc, s[0:1], vcc
	s_waitcnt vmcnt(2)
	v_mul_f16_sdwa v13, v12, v15 dst_sel:DWORD dst_unused:UNUSED_PAD src0_sel:DWORD src1_sel:WORD_1
	v_addc_co_u32_e32 v6, vcc, 0, v6, vcc
	v_fma_f16 v13, v4, v15, v13
	v_cmp_gt_i32_e32 vcc, 31, v7
	v_cvt_f32_f16_e32 v13, v13
	v_cndmask_b32_e32 v6, v2, v6, vcc
	v_cmp_ne_u32_e32 vcc, 0, v5
	v_cndmask_b32_e64 v5, 0, 1, vcc
	v_lshl_or_b32 v5, v5, 9, v2
	v_cmp_eq_u32_e32 vcc, s17, v7
	v_cndmask_b32_e32 v7, v6, v5, vcc
	v_cvt_f64_f32_e32 v[5:6], v13
	v_lshrrev_b32_e32 v8, 16, v8
	v_and_or_b32 v7, v8, s18, v7
	v_and_b32_e32 v3, 0xffff, v3
	v_mul_f64 v[5:6], v[5:6], s[14:15]
	v_lshl_or_b32 v3, v7, 16, v3
	v_mov_b32_e32 v7, s2
	v_add_co_u32_e32 v0, vcc, s3, v0
	v_addc_co_u32_e32 v1, vcc, v1, v7, vcc
	global_store_dword v[0:1], v3, off
	v_and_or_b32 v3, v6, s10, v5
	v_cmp_ne_u32_e32 vcc, 0, v3
	v_cndmask_b32_e64 v3, 0, 1, vcc
	v_lshrrev_b32_e32 v5, 8, v6
	v_bfe_u32 v7, v6, 20, 11
	v_and_or_b32 v5, v5, s16, v3
	v_sub_u32_e32 v8, 0x3f1, v7
	v_or_b32_e32 v3, 0x1000, v5
	v_med3_i32 v8, v8, 0, 13
	v_lshrrev_b32_e32 v13, v8, v3
	v_lshlrev_b32_e32 v8, v8, v13
	v_mul_f16_sdwa v4, v4, v15 dst_sel:DWORD dst_unused:UNUSED_PAD src0_sel:DWORD src1_sel:WORD_1
	v_cmp_ne_u32_e32 vcc, v8, v3
	v_fma_f16 v4, v15, v12, -v4
	v_cndmask_b32_e64 v3, 0, 1, vcc
	v_add_u32_e32 v7, 0xfffffc10, v7
	v_cvt_f32_f16_e32 v4, v4
	v_or_b32_e32 v3, v13, v3
	v_lshl_or_b32 v8, v7, 12, v5
	v_cmp_gt_i32_e32 vcc, 1, v7
	v_cndmask_b32_e32 v3, v8, v3, vcc
	v_and_b32_e32 v8, 7, v3
	v_cmp_lt_i32_e32 vcc, 5, v8
	v_cmp_eq_u32_e64 s[0:1], 3, v8
	v_lshrrev_b32_e32 v8, 2, v3
	v_cvt_f64_f32_e32 v[3:4], v4
	s_or_b64 vcc, s[0:1], vcc
	v_addc_co_u32_e32 v8, vcc, 0, v8, vcc
	v_mul_f64 v[3:4], v[3:4], s[14:15]
	v_cmp_gt_i32_e32 vcc, 31, v7
	v_cndmask_b32_e32 v8, v2, v8, vcc
	v_cmp_ne_u32_e32 vcc, 0, v5
	v_cndmask_b32_e64 v5, 0, 1, vcc
	v_lshl_or_b32 v5, v5, 9, v2
	v_cmp_eq_u32_e32 vcc, s17, v7
	v_cndmask_b32_e32 v5, v8, v5, vcc
	v_and_or_b32 v3, v4, s10, v3
	v_lshrrev_b32_e32 v6, 16, v6
	v_cmp_ne_u32_e32 vcc, 0, v3
	v_and_or_b32 v12, v6, s18, v5
	v_cndmask_b32_e64 v3, 0, 1, vcc
	v_lshrrev_b32_e32 v5, 8, v4
	v_bfe_u32 v6, v4, 20, 11
	v_and_or_b32 v3, v5, s16, v3
	v_sub_u32_e32 v7, 0x3f1, v6
	v_or_b32_e32 v5, 0x1000, v3
	v_med3_i32 v7, v7, 0, 13
	v_lshrrev_b32_e32 v8, v7, v5
	v_lshlrev_b32_e32 v7, v7, v8
	v_cmp_ne_u32_e32 vcc, v7, v5
	v_cndmask_b32_e64 v5, 0, 1, vcc
	v_add_u32_e32 v7, 0xfffffc10, v6
	v_or_b32_e32 v5, v8, v5
	v_lshl_or_b32 v6, v7, 12, v3
	v_cmp_gt_i32_e32 vcc, 1, v7
	v_cndmask_b32_e32 v5, v6, v5, vcc
	v_and_b32_e32 v6, 7, v5
	v_cmp_lt_i32_e32 vcc, 5, v6
	v_cmp_eq_u32_e64 s[0:1], 3, v6
	v_lshrrev_b32_e32 v5, 2, v5
	s_or_b64 vcc, s[0:1], vcc
	v_addc_co_u32_e32 v8, vcc, 0, v5, vcc
	v_add_u32_e32 v5, 0xe00, v30
	ds_read2_b32 v[5:6], v5 offset0:84 offset1:224
	v_cmp_gt_i32_e32 vcc, 31, v7
	v_cndmask_b32_e32 v8, v2, v8, vcc
	v_cmp_ne_u32_e32 vcc, 0, v3
	v_cndmask_b32_e64 v3, 0, 1, vcc
	s_waitcnt lgkmcnt(0)
	v_lshrrev_b32_e32 v13, 16, v5
	s_waitcnt vmcnt(2)
	v_mul_f16_sdwa v14, v13, v16 dst_sel:DWORD dst_unused:UNUSED_PAD src0_sel:DWORD src1_sel:WORD_1
	v_fma_f16 v14, v5, v16, v14
	v_cvt_f32_f16_e32 v14, v14
	v_lshl_or_b32 v3, v3, 9, v2
	v_cmp_eq_u32_e32 vcc, s17, v7
	v_cndmask_b32_e32 v3, v8, v3, vcc
	v_cvt_f64_f32_e32 v[7:8], v14
	v_lshrrev_b32_e32 v4, 16, v4
	v_and_or_b32 v14, v4, s18, v3
	v_add_co_u32_e32 v0, vcc, s3, v0
	v_mul_f64 v[3:4], v[7:8], s[14:15]
	v_mov_b32_e32 v8, s2
	v_and_b32_e32 v12, 0xffff, v12
	v_addc_co_u32_e32 v1, vcc, v1, v8, vcc
	v_lshl_or_b32 v7, v14, 16, v12
	global_store_dword v[0:1], v7, off
	v_mul_f16_sdwa v5, v5, v16 dst_sel:DWORD dst_unused:UNUSED_PAD src0_sel:DWORD src1_sel:WORD_1
	v_and_or_b32 v3, v4, s10, v3
	v_cmp_ne_u32_e32 vcc, 0, v3
	v_cndmask_b32_e64 v3, 0, 1, vcc
	v_lshrrev_b32_e32 v7, 8, v4
	v_bfe_u32 v8, v4, 20, 11
	v_and_or_b32 v3, v7, s16, v3
	v_sub_u32_e32 v12, 0x3f1, v8
	v_or_b32_e32 v7, 0x1000, v3
	v_med3_i32 v12, v12, 0, 13
	v_lshrrev_b32_e32 v14, v12, v7
	v_lshlrev_b32_e32 v12, v12, v14
	v_cmp_ne_u32_e32 vcc, v12, v7
	v_fma_f16 v5, v16, v13, -v5
	v_cndmask_b32_e64 v7, 0, 1, vcc
	v_add_u32_e32 v12, 0xfffffc10, v8
	v_cvt_f32_f16_e32 v5, v5
	v_or_b32_e32 v7, v14, v7
	v_lshl_or_b32 v8, v12, 12, v3
	v_cmp_gt_i32_e32 vcc, 1, v12
	v_cndmask_b32_e32 v7, v8, v7, vcc
	v_and_b32_e32 v8, 7, v7
	v_cmp_lt_i32_e32 vcc, 5, v8
	v_cmp_eq_u32_e64 s[0:1], 3, v8
	v_lshrrev_b32_e32 v13, 2, v7
	v_cvt_f64_f32_e32 v[7:8], v5
	s_or_b64 vcc, s[0:1], vcc
	v_addc_co_u32_e32 v5, vcc, 0, v13, vcc
	v_mul_f64 v[7:8], v[7:8], s[14:15]
	v_cmp_gt_i32_e32 vcc, 31, v12
	v_cndmask_b32_e32 v5, v2, v5, vcc
	v_cmp_ne_u32_e32 vcc, 0, v3
	v_cndmask_b32_e64 v3, 0, 1, vcc
	v_lshl_or_b32 v3, v3, 9, v2
	v_cmp_eq_u32_e32 vcc, s17, v12
	v_cndmask_b32_e32 v3, v5, v3, vcc
	v_lshrrev_b32_e32 v4, 16, v4
	v_and_or_b32 v5, v4, s18, v3
	v_and_or_b32 v3, v8, s10, v7
	v_cmp_ne_u32_e32 vcc, 0, v3
	v_cndmask_b32_e64 v3, 0, 1, vcc
	v_lshrrev_b32_e32 v4, 8, v8
	v_bfe_u32 v7, v8, 20, 11
	v_and_or_b32 v3, v4, s16, v3
	v_sub_u32_e32 v12, 0x3f1, v7
	v_or_b32_e32 v4, 0x1000, v3
	v_med3_i32 v12, v12, 0, 13
	v_lshrrev_b32_e32 v13, v12, v4
	v_lshlrev_b32_e32 v12, v12, v13
	v_cmp_ne_u32_e32 vcc, v12, v4
	v_cndmask_b32_e64 v4, 0, 1, vcc
	v_add_u32_e32 v7, 0xfffffc10, v7
	v_or_b32_e32 v4, v13, v4
	v_lshl_or_b32 v12, v7, 12, v3
	v_cmp_gt_i32_e32 vcc, 1, v7
	v_cndmask_b32_e32 v4, v12, v4, vcc
	v_and_b32_e32 v12, 7, v4
	v_cmp_lt_i32_e32 vcc, 5, v12
	v_cmp_eq_u32_e64 s[0:1], 3, v12
	v_lshrrev_b32_e32 v12, 16, v6
	v_lshrrev_b32_e32 v4, 2, v4
	s_or_b64 vcc, s[0:1], vcc
	v_mul_f16_sdwa v13, v12, v10 dst_sel:DWORD dst_unused:UNUSED_PAD src0_sel:DWORD src1_sel:WORD_1
	v_addc_co_u32_e32 v4, vcc, 0, v4, vcc
	v_fma_f16 v13, v6, v10, v13
	v_cmp_gt_i32_e32 vcc, 31, v7
	v_cvt_f32_f16_e32 v13, v13
	v_cndmask_b32_e32 v4, v2, v4, vcc
	v_cmp_ne_u32_e32 vcc, 0, v3
	v_cndmask_b32_e64 v3, 0, 1, vcc
	v_lshl_or_b32 v3, v3, 9, v2
	v_cmp_eq_u32_e32 vcc, s17, v7
	v_cndmask_b32_e32 v7, v4, v3, vcc
	v_cvt_f64_f32_e32 v[3:4], v13
	v_lshrrev_b32_e32 v8, 16, v8
	v_and_or_b32 v7, v8, s18, v7
	v_and_b32_e32 v5, 0xffff, v5
	v_mul_f64 v[3:4], v[3:4], s[14:15]
	v_lshl_or_b32 v5, v7, 16, v5
	v_mov_b32_e32 v7, s2
	v_add_co_u32_e32 v0, vcc, s3, v0
	v_addc_co_u32_e32 v1, vcc, v1, v7, vcc
	global_store_dword v[0:1], v5, off
	v_and_or_b32 v3, v4, s10, v3
	v_cmp_ne_u32_e32 vcc, 0, v3
	v_cndmask_b32_e64 v3, 0, 1, vcc
	v_lshrrev_b32_e32 v5, 8, v4
	v_bfe_u32 v7, v4, 20, 11
	v_and_or_b32 v3, v5, s16, v3
	v_sub_u32_e32 v8, 0x3f1, v7
	v_or_b32_e32 v5, 0x1000, v3
	v_med3_i32 v8, v8, 0, 13
	v_lshrrev_b32_e32 v13, v8, v5
	v_lshlrev_b32_e32 v8, v8, v13
	v_mul_f16_sdwa v6, v6, v10 dst_sel:DWORD dst_unused:UNUSED_PAD src0_sel:DWORD src1_sel:WORD_1
	v_cmp_ne_u32_e32 vcc, v8, v5
	v_fma_f16 v6, v10, v12, -v6
	v_cndmask_b32_e64 v5, 0, 1, vcc
	v_add_u32_e32 v7, 0xfffffc10, v7
	v_cvt_f32_f16_e32 v6, v6
	v_or_b32_e32 v5, v13, v5
	v_lshl_or_b32 v8, v7, 12, v3
	v_cmp_gt_i32_e32 vcc, 1, v7
	v_cndmask_b32_e32 v5, v8, v5, vcc
	v_and_b32_e32 v8, 7, v5
	v_cmp_lt_i32_e32 vcc, 5, v8
	v_cmp_eq_u32_e64 s[0:1], 3, v8
	v_lshrrev_b32_e32 v8, 2, v5
	v_cvt_f64_f32_e32 v[5:6], v6
	s_or_b64 vcc, s[0:1], vcc
	v_addc_co_u32_e32 v8, vcc, 0, v8, vcc
	v_mul_f64 v[5:6], v[5:6], s[14:15]
	v_cmp_gt_i32_e32 vcc, 31, v7
	v_cndmask_b32_e32 v8, v2, v8, vcc
	v_cmp_ne_u32_e32 vcc, 0, v3
	v_cndmask_b32_e64 v3, 0, 1, vcc
	v_lshl_or_b32 v3, v3, 9, v2
	v_cmp_eq_u32_e32 vcc, s17, v7
	v_cndmask_b32_e32 v3, v8, v3, vcc
	v_lshrrev_b32_e32 v4, 16, v4
	v_and_or_b32 v10, v4, s18, v3
	v_and_or_b32 v3, v6, s10, v5
	v_cmp_ne_u32_e32 vcc, 0, v3
	v_cndmask_b32_e64 v3, 0, 1, vcc
	v_lshrrev_b32_e32 v4, 8, v6
	v_and_or_b32 v5, v4, s16, v3
	v_bfe_u32 v4, v6, 20, 11
	v_sub_u32_e32 v7, 0x3f1, v4
	v_or_b32_e32 v3, 0x1000, v5
	v_med3_i32 v7, v7, 0, 13
	v_lshrrev_b32_e32 v8, v7, v3
	v_lshlrev_b32_e32 v7, v7, v8
	v_cmp_ne_u32_e32 vcc, v7, v3
	v_cndmask_b32_e64 v3, 0, 1, vcc
	v_add_u32_e32 v7, 0xfffffc10, v4
	v_or_b32_e32 v3, v8, v3
	v_lshl_or_b32 v4, v7, 12, v5
	v_cmp_gt_i32_e32 vcc, 1, v7
	v_cndmask_b32_e32 v3, v4, v3, vcc
	v_and_b32_e32 v4, 7, v3
	v_cmp_lt_i32_e32 vcc, 5, v4
	v_cmp_eq_u32_e64 s[0:1], 3, v4
	v_lshrrev_b32_e32 v3, 2, v3
	s_or_b64 vcc, s[0:1], vcc
	v_addc_co_u32_e32 v8, vcc, 0, v3, vcc
	v_add_u32_e32 v3, 0x1200, v30
	ds_read2_b32 v[3:4], v3 offset0:108 offset1:248
	v_cmp_gt_i32_e32 vcc, 31, v7
	v_cndmask_b32_e32 v8, v2, v8, vcc
	v_cmp_ne_u32_e32 vcc, 0, v5
	v_cndmask_b32_e64 v5, 0, 1, vcc
	s_waitcnt lgkmcnt(0)
	v_lshrrev_b32_e32 v12, 16, v3
	v_mul_f16_sdwa v13, v12, v11 dst_sel:DWORD dst_unused:UNUSED_PAD src0_sel:DWORD src1_sel:WORD_1
	v_fma_f16 v13, v3, v11, v13
	v_cvt_f32_f16_e32 v13, v13
	v_lshl_or_b32 v5, v5, 9, v2
	v_cmp_eq_u32_e32 vcc, s17, v7
	v_cndmask_b32_e32 v5, v8, v5, vcc
	v_cvt_f64_f32_e32 v[7:8], v13
	v_lshrrev_b32_e32 v6, 16, v6
	v_and_or_b32 v13, v6, s18, v5
	v_add_co_u32_e32 v0, vcc, s3, v0
	v_mul_f64 v[5:6], v[7:8], s[14:15]
	v_mov_b32_e32 v8, s2
	v_and_b32_e32 v10, 0xffff, v10
	v_addc_co_u32_e32 v1, vcc, v1, v8, vcc
	v_lshl_or_b32 v7, v13, 16, v10
	global_store_dword v[0:1], v7, off
	v_mul_f16_sdwa v3, v3, v11 dst_sel:DWORD dst_unused:UNUSED_PAD src0_sel:DWORD src1_sel:WORD_1
	v_and_or_b32 v5, v6, s10, v5
	v_cmp_ne_u32_e32 vcc, 0, v5
	v_cndmask_b32_e64 v5, 0, 1, vcc
	v_lshrrev_b32_e32 v7, 8, v6
	v_bfe_u32 v8, v6, 20, 11
	v_and_or_b32 v5, v7, s16, v5
	v_sub_u32_e32 v10, 0x3f1, v8
	v_or_b32_e32 v7, 0x1000, v5
	v_med3_i32 v10, v10, 0, 13
	v_lshrrev_b32_e32 v13, v10, v7
	v_lshlrev_b32_e32 v10, v10, v13
	v_cmp_ne_u32_e32 vcc, v10, v7
	v_fma_f16 v3, v11, v12, -v3
	v_cndmask_b32_e64 v7, 0, 1, vcc
	v_add_u32_e32 v10, 0xfffffc10, v8
	v_cvt_f32_f16_e32 v3, v3
	v_or_b32_e32 v7, v13, v7
	v_lshl_or_b32 v8, v10, 12, v5
	v_cmp_gt_i32_e32 vcc, 1, v10
	v_cndmask_b32_e32 v7, v8, v7, vcc
	v_and_b32_e32 v8, 7, v7
	v_cmp_lt_i32_e32 vcc, 5, v8
	v_cmp_eq_u32_e64 s[0:1], 3, v8
	v_lshrrev_b32_e32 v11, 2, v7
	v_cvt_f64_f32_e32 v[7:8], v3
	s_or_b64 vcc, s[0:1], vcc
	v_addc_co_u32_e32 v3, vcc, 0, v11, vcc
	v_mul_f64 v[7:8], v[7:8], s[14:15]
	v_cmp_gt_i32_e32 vcc, 31, v10
	v_cndmask_b32_e32 v3, v2, v3, vcc
	v_cmp_ne_u32_e32 vcc, 0, v5
	v_cndmask_b32_e64 v5, 0, 1, vcc
	v_lshl_or_b32 v5, v5, 9, v2
	v_cmp_eq_u32_e32 vcc, s17, v10
	v_cndmask_b32_e32 v3, v3, v5, vcc
	v_lshrrev_b32_e32 v5, 16, v6
	v_and_or_b32 v3, v5, s18, v3
	v_and_or_b32 v5, v8, s10, v7
	v_cmp_ne_u32_e32 vcc, 0, v5
	v_cndmask_b32_e64 v5, 0, 1, vcc
	v_lshrrev_b32_e32 v6, 8, v8
	v_bfe_u32 v7, v8, 20, 11
	v_and_or_b32 v5, v6, s16, v5
	v_sub_u32_e32 v10, 0x3f1, v7
	v_or_b32_e32 v6, 0x1000, v5
	v_med3_i32 v10, v10, 0, 13
	v_lshrrev_b32_e32 v11, v10, v6
	v_lshlrev_b32_e32 v10, v10, v11
	v_cmp_ne_u32_e32 vcc, v10, v6
	v_cndmask_b32_e64 v6, 0, 1, vcc
	v_add_u32_e32 v7, 0xfffffc10, v7
	v_or_b32_e32 v6, v11, v6
	v_lshl_or_b32 v10, v7, 12, v5
	v_cmp_gt_i32_e32 vcc, 1, v7
	v_cndmask_b32_e32 v6, v10, v6, vcc
	v_and_b32_e32 v10, 7, v6
	v_cmp_lt_i32_e32 vcc, 5, v10
	v_cmp_eq_u32_e64 s[0:1], 3, v10
	v_lshrrev_b32_e32 v10, 16, v4
	v_lshrrev_b32_e32 v6, 2, v6
	s_or_b64 vcc, s[0:1], vcc
	v_mul_f16_sdwa v11, v10, v9 dst_sel:DWORD dst_unused:UNUSED_PAD src0_sel:DWORD src1_sel:WORD_1
	v_addc_co_u32_e32 v6, vcc, 0, v6, vcc
	v_fma_f16 v11, v4, v9, v11
	v_cmp_gt_i32_e32 vcc, 31, v7
	v_cvt_f32_f16_e32 v11, v11
	v_cndmask_b32_e32 v6, v2, v6, vcc
	v_cmp_ne_u32_e32 vcc, 0, v5
	v_cndmask_b32_e64 v5, 0, 1, vcc
	v_lshl_or_b32 v5, v5, 9, v2
	v_cmp_eq_u32_e32 vcc, s17, v7
	v_cndmask_b32_e32 v7, v6, v5, vcc
	v_cvt_f64_f32_e32 v[5:6], v11
	v_lshrrev_b32_e32 v8, 16, v8
	v_and_or_b32 v7, v8, s18, v7
	v_and_b32_e32 v3, 0xffff, v3
	v_mul_f64 v[5:6], v[5:6], s[14:15]
	v_lshl_or_b32 v3, v7, 16, v3
	v_mov_b32_e32 v7, s2
	v_add_co_u32_e32 v0, vcc, s3, v0
	v_addc_co_u32_e32 v1, vcc, v1, v7, vcc
	global_store_dword v[0:1], v3, off
	v_and_or_b32 v3, v6, s10, v5
	v_cmp_ne_u32_e32 vcc, 0, v3
	v_cndmask_b32_e64 v3, 0, 1, vcc
	v_lshrrev_b32_e32 v5, 8, v6
	v_bfe_u32 v7, v6, 20, 11
	v_and_or_b32 v5, v5, s16, v3
	v_sub_u32_e32 v8, 0x3f1, v7
	v_or_b32_e32 v3, 0x1000, v5
	v_med3_i32 v8, v8, 0, 13
	v_lshrrev_b32_e32 v11, v8, v3
	v_lshlrev_b32_e32 v8, v8, v11
	v_mul_f16_sdwa v4, v4, v9 dst_sel:DWORD dst_unused:UNUSED_PAD src0_sel:DWORD src1_sel:WORD_1
	v_cmp_ne_u32_e32 vcc, v8, v3
	v_fma_f16 v4, v9, v10, -v4
	v_cndmask_b32_e64 v3, 0, 1, vcc
	v_add_u32_e32 v7, 0xfffffc10, v7
	v_cvt_f32_f16_e32 v4, v4
	v_or_b32_e32 v3, v11, v3
	v_lshl_or_b32 v8, v7, 12, v5
	v_cmp_gt_i32_e32 vcc, 1, v7
	v_cndmask_b32_e32 v3, v8, v3, vcc
	v_and_b32_e32 v8, 7, v3
	v_cmp_lt_i32_e32 vcc, 5, v8
	v_cmp_eq_u32_e64 s[0:1], 3, v8
	v_lshrrev_b32_e32 v8, 2, v3
	v_cvt_f64_f32_e32 v[3:4], v4
	s_or_b64 vcc, s[0:1], vcc
	v_addc_co_u32_e32 v8, vcc, 0, v8, vcc
	v_mul_f64 v[3:4], v[3:4], s[14:15]
	v_cmp_gt_i32_e32 vcc, 31, v7
	v_cndmask_b32_e32 v8, v2, v8, vcc
	v_cmp_ne_u32_e32 vcc, 0, v5
	v_cndmask_b32_e64 v5, 0, 1, vcc
	v_lshl_or_b32 v5, v5, 9, v2
	v_cmp_eq_u32_e32 vcc, s17, v7
	v_cndmask_b32_e32 v5, v8, v5, vcc
	v_and_or_b32 v3, v4, s10, v3
	v_lshrrev_b32_e32 v6, 16, v6
	v_cmp_ne_u32_e32 vcc, 0, v3
	v_and_or_b32 v5, v6, s18, v5
	v_cndmask_b32_e64 v3, 0, 1, vcc
	v_lshrrev_b32_e32 v6, 8, v4
	v_bfe_u32 v7, v4, 20, 11
	v_and_or_b32 v3, v6, s16, v3
	v_sub_u32_e32 v8, 0x3f1, v7
	v_or_b32_e32 v6, 0x1000, v3
	v_med3_i32 v8, v8, 0, 13
	v_lshrrev_b32_e32 v9, v8, v6
	v_lshlrev_b32_e32 v8, v8, v9
	v_cmp_ne_u32_e32 vcc, v8, v6
	v_cndmask_b32_e64 v6, 0, 1, vcc
	v_add_u32_e32 v7, 0xfffffc10, v7
	v_or_b32_e32 v6, v9, v6
	v_lshl_or_b32 v8, v7, 12, v3
	v_cmp_gt_i32_e32 vcc, 1, v7
	v_cndmask_b32_e32 v6, v8, v6, vcc
	v_and_b32_e32 v8, 7, v6
	v_cmp_lt_i32_e32 vcc, 5, v8
	v_cmp_eq_u32_e64 s[0:1], 3, v8
	v_lshrrev_b32_e32 v6, 2, v6
	s_or_b64 vcc, s[0:1], vcc
	v_addc_co_u32_e32 v6, vcc, 0, v6, vcc
	v_cmp_gt_i32_e32 vcc, 31, v7
	v_cndmask_b32_e32 v6, v2, v6, vcc
	v_cmp_ne_u32_e32 vcc, 0, v3
	v_cndmask_b32_e64 v3, 0, 1, vcc
	v_lshl_or_b32 v2, v3, 9, v2
	v_cmp_eq_u32_e32 vcc, s17, v7
	v_cndmask_b32_e32 v2, v6, v2, vcc
	v_lshrrev_b32_e32 v3, 16, v4
	v_and_or_b32 v2, v3, s18, v2
	v_and_b32_e32 v3, 0xffff, v5
	v_lshl_or_b32 v2, v2, 16, v3
	v_mov_b32_e32 v3, s2
	v_add_co_u32_e32 v0, vcc, s3, v0
	v_addc_co_u32_e32 v1, vcc, v1, v3, vcc
	global_store_dword v[0:1], v2, off
.LBB0_23:
	s_endpgm
	.section	.rodata,"a",@progbits
	.p2align	6, 0x0
	.amdhsa_kernel bluestein_single_fwd_len1540_dim1_half_op_CI_CI
		.amdhsa_group_segment_fixed_size 6160
		.amdhsa_private_segment_fixed_size 0
		.amdhsa_kernarg_size 104
		.amdhsa_user_sgpr_count 6
		.amdhsa_user_sgpr_private_segment_buffer 1
		.amdhsa_user_sgpr_dispatch_ptr 0
		.amdhsa_user_sgpr_queue_ptr 0
		.amdhsa_user_sgpr_kernarg_segment_ptr 1
		.amdhsa_user_sgpr_dispatch_id 0
		.amdhsa_user_sgpr_flat_scratch_init 0
		.amdhsa_user_sgpr_private_segment_size 0
		.amdhsa_uses_dynamic_stack 0
		.amdhsa_system_sgpr_private_segment_wavefront_offset 0
		.amdhsa_system_sgpr_workgroup_id_x 1
		.amdhsa_system_sgpr_workgroup_id_y 0
		.amdhsa_system_sgpr_workgroup_id_z 0
		.amdhsa_system_sgpr_workgroup_info 0
		.amdhsa_system_vgpr_workitem_id 0
		.amdhsa_next_free_vgpr 148
		.amdhsa_next_free_sgpr 29
		.amdhsa_reserve_vcc 1
		.amdhsa_reserve_flat_scratch 0
		.amdhsa_float_round_mode_32 0
		.amdhsa_float_round_mode_16_64 0
		.amdhsa_float_denorm_mode_32 3
		.amdhsa_float_denorm_mode_16_64 3
		.amdhsa_dx10_clamp 1
		.amdhsa_ieee_mode 1
		.amdhsa_fp16_overflow 0
		.amdhsa_exception_fp_ieee_invalid_op 0
		.amdhsa_exception_fp_denorm_src 0
		.amdhsa_exception_fp_ieee_div_zero 0
		.amdhsa_exception_fp_ieee_overflow 0
		.amdhsa_exception_fp_ieee_underflow 0
		.amdhsa_exception_fp_ieee_inexact 0
		.amdhsa_exception_int_div_zero 0
	.end_amdhsa_kernel
	.text
.Lfunc_end0:
	.size	bluestein_single_fwd_len1540_dim1_half_op_CI_CI, .Lfunc_end0-bluestein_single_fwd_len1540_dim1_half_op_CI_CI
                                        ; -- End function
	.section	.AMDGPU.csdata,"",@progbits
; Kernel info:
; codeLenInByte = 20752
; NumSgprs: 33
; NumVgprs: 148
; ScratchSize: 0
; MemoryBound: 0
; FloatMode: 240
; IeeeMode: 1
; LDSByteSize: 6160 bytes/workgroup (compile time only)
; SGPRBlocks: 4
; VGPRBlocks: 36
; NumSGPRsForWavesPerEU: 33
; NumVGPRsForWavesPerEU: 148
; Occupancy: 1
; WaveLimiterHint : 1
; COMPUTE_PGM_RSRC2:SCRATCH_EN: 0
; COMPUTE_PGM_RSRC2:USER_SGPR: 6
; COMPUTE_PGM_RSRC2:TRAP_HANDLER: 0
; COMPUTE_PGM_RSRC2:TGID_X_EN: 1
; COMPUTE_PGM_RSRC2:TGID_Y_EN: 0
; COMPUTE_PGM_RSRC2:TGID_Z_EN: 0
; COMPUTE_PGM_RSRC2:TIDIG_COMP_CNT: 0
	.type	__hip_cuid_7451912017c92e08,@object ; @__hip_cuid_7451912017c92e08
	.section	.bss,"aw",@nobits
	.globl	__hip_cuid_7451912017c92e08
__hip_cuid_7451912017c92e08:
	.byte	0                               ; 0x0
	.size	__hip_cuid_7451912017c92e08, 1

	.ident	"AMD clang version 19.0.0git (https://github.com/RadeonOpenCompute/llvm-project roc-6.4.0 25133 c7fe45cf4b819c5991fe208aaa96edf142730f1d)"
	.section	".note.GNU-stack","",@progbits
	.addrsig
	.addrsig_sym __hip_cuid_7451912017c92e08
	.amdgpu_metadata
---
amdhsa.kernels:
  - .args:
      - .actual_access:  read_only
        .address_space:  global
        .offset:         0
        .size:           8
        .value_kind:     global_buffer
      - .actual_access:  read_only
        .address_space:  global
        .offset:         8
        .size:           8
        .value_kind:     global_buffer
      - .actual_access:  read_only
        .address_space:  global
        .offset:         16
        .size:           8
        .value_kind:     global_buffer
      - .actual_access:  read_only
        .address_space:  global
        .offset:         24
        .size:           8
        .value_kind:     global_buffer
      - .actual_access:  read_only
        .address_space:  global
        .offset:         32
        .size:           8
        .value_kind:     global_buffer
      - .offset:         40
        .size:           8
        .value_kind:     by_value
      - .address_space:  global
        .offset:         48
        .size:           8
        .value_kind:     global_buffer
      - .address_space:  global
        .offset:         56
        .size:           8
        .value_kind:     global_buffer
      - .address_space:  global
        .offset:         64
        .size:           8
        .value_kind:     global_buffer
      - .address_space:  global
        .offset:         72
        .size:           8
        .value_kind:     global_buffer
      - .offset:         80
        .size:           4
        .value_kind:     by_value
      - .address_space:  global
        .offset:         88
        .size:           8
        .value_kind:     global_buffer
      - .address_space:  global
        .offset:         96
        .size:           8
        .value_kind:     global_buffer
    .group_segment_fixed_size: 6160
    .kernarg_segment_align: 8
    .kernarg_segment_size: 104
    .language:       OpenCL C
    .language_version:
      - 2
      - 0
    .max_flat_workgroup_size: 154
    .name:           bluestein_single_fwd_len1540_dim1_half_op_CI_CI
    .private_segment_fixed_size: 0
    .sgpr_count:     33
    .sgpr_spill_count: 0
    .symbol:         bluestein_single_fwd_len1540_dim1_half_op_CI_CI.kd
    .uniform_work_group_size: 1
    .uses_dynamic_stack: false
    .vgpr_count:     148
    .vgpr_spill_count: 0
    .wavefront_size: 64
amdhsa.target:   amdgcn-amd-amdhsa--gfx906
amdhsa.version:
  - 1
  - 2
...

	.end_amdgpu_metadata
